;; amdgpu-corpus repo=ROCm/rocFFT kind=compiled arch=gfx950 opt=O3
	.text
	.amdgcn_target "amdgcn-amd-amdhsa--gfx950"
	.amdhsa_code_object_version 6
	.protected	fft_rtc_fwd_len1701_factors_3_3_3_3_3_7_wgs_63_tpt_63_halfLds_sp_op_CI_CI_sbrr_dirReg ; -- Begin function fft_rtc_fwd_len1701_factors_3_3_3_3_3_7_wgs_63_tpt_63_halfLds_sp_op_CI_CI_sbrr_dirReg
	.globl	fft_rtc_fwd_len1701_factors_3_3_3_3_3_7_wgs_63_tpt_63_halfLds_sp_op_CI_CI_sbrr_dirReg
	.p2align	8
	.type	fft_rtc_fwd_len1701_factors_3_3_3_3_3_7_wgs_63_tpt_63_halfLds_sp_op_CI_CI_sbrr_dirReg,@function
fft_rtc_fwd_len1701_factors_3_3_3_3_3_7_wgs_63_tpt_63_halfLds_sp_op_CI_CI_sbrr_dirReg: ; @fft_rtc_fwd_len1701_factors_3_3_3_3_3_7_wgs_63_tpt_63_halfLds_sp_op_CI_CI_sbrr_dirReg
; %bb.0:
	s_load_dwordx4 s[12:15], s[0:1], 0x18
	s_load_dwordx4 s[4:7], s[0:1], 0x0
	;; [unrolled: 1-line block ×3, first 2 shown]
	v_mul_u32_u24_e32 v1, 0x411, v0
	v_add_u32_sdwa v4, s2, v1 dst_sel:DWORD dst_unused:UNUSED_PAD src0_sel:DWORD src1_sel:WORD_1
	s_waitcnt lgkmcnt(0)
	s_load_dwordx2 s[18:19], s[12:13], 0x0
	s_load_dwordx2 s[16:17], s[14:15], 0x0
	v_mov_b32_e32 v2, 0
	v_cmp_lt_u64_e64 s[2:3], s[6:7], 2
	v_mov_b32_e32 v5, v2
	s_and_b64 vcc, exec, s[2:3]
	v_mov_b64_e32 v[68:69], 0
	s_cbranch_vccnz .LBB0_8
; %bb.1:
	s_load_dwordx2 s[2:3], s[0:1], 0x10
	s_add_u32 s20, s14, 8
	s_addc_u32 s21, s15, 0
	s_add_u32 s22, s12, 8
	s_addc_u32 s23, s13, 0
	s_waitcnt lgkmcnt(0)
	s_add_u32 s24, s2, 8
	v_mov_b64_e32 v[68:69], 0
	s_addc_u32 s25, s3, 0
	s_mov_b64 s[26:27], 1
	v_mov_b64_e32 v[24:25], v[68:69]
.LBB0_2:                                ; =>This Inner Loop Header: Depth=1
	s_load_dwordx2 s[28:29], s[24:25], 0x0
                                        ; implicit-def: $vgpr8_vgpr9
	s_waitcnt lgkmcnt(0)
	v_or_b32_e32 v3, s29, v5
	v_cmp_ne_u64_e32 vcc, 0, v[2:3]
	s_and_saveexec_b64 s[2:3], vcc
	s_xor_b64 s[30:31], exec, s[2:3]
	s_cbranch_execz .LBB0_4
; %bb.3:                                ;   in Loop: Header=BB0_2 Depth=1
	v_cvt_f32_u32_e32 v1, s28
	v_cvt_f32_u32_e32 v3, s29
	s_sub_u32 s2, 0, s28
	s_subb_u32 s3, 0, s29
	v_fmac_f32_e32 v1, 0x4f800000, v3
	v_rcp_f32_e32 v1, v1
	s_nop 0
	v_mul_f32_e32 v1, 0x5f7ffffc, v1
	v_mul_f32_e32 v3, 0x2f800000, v1
	v_trunc_f32_e32 v3, v3
	v_fmac_f32_e32 v1, 0xcf800000, v3
	v_cvt_u32_f32_e32 v3, v3
	v_cvt_u32_f32_e32 v1, v1
	v_mul_lo_u32 v6, s2, v3
	v_mul_hi_u32 v8, s2, v1
	v_mul_lo_u32 v7, s3, v1
	v_add_u32_e32 v8, v8, v6
	v_mul_lo_u32 v10, s2, v1
	v_add_u32_e32 v11, v8, v7
	v_mul_hi_u32 v6, v1, v10
	v_mul_hi_u32 v9, v1, v11
	v_mul_lo_u32 v8, v1, v11
	v_mov_b32_e32 v7, v2
	v_lshl_add_u64 v[6:7], v[6:7], 0, v[8:9]
	v_mul_hi_u32 v9, v3, v10
	v_mul_lo_u32 v10, v3, v10
	v_add_co_u32_e32 v6, vcc, v6, v10
	v_mul_hi_u32 v8, v3, v11
	s_nop 0
	v_addc_co_u32_e32 v6, vcc, v7, v9, vcc
	v_mov_b32_e32 v7, v2
	s_nop 0
	v_addc_co_u32_e32 v9, vcc, 0, v8, vcc
	v_mul_lo_u32 v8, v3, v11
	v_lshl_add_u64 v[6:7], v[6:7], 0, v[8:9]
	v_add_co_u32_e32 v1, vcc, v1, v6
	v_mul_lo_u32 v8, s2, v1
	s_nop 0
	v_addc_co_u32_e32 v3, vcc, v3, v7, vcc
	v_mul_lo_u32 v6, s2, v3
	v_mul_hi_u32 v7, s2, v1
	v_add_u32_e32 v6, v7, v6
	v_mul_lo_u32 v7, s3, v1
	v_add_u32_e32 v10, v6, v7
	v_mul_hi_u32 v12, v3, v8
	v_mul_lo_u32 v13, v3, v8
	v_mul_hi_u32 v7, v1, v10
	v_mul_lo_u32 v6, v1, v10
	v_mul_hi_u32 v8, v1, v8
	v_mov_b32_e32 v9, v2
	v_lshl_add_u64 v[6:7], v[8:9], 0, v[6:7]
	v_add_co_u32_e32 v6, vcc, v6, v13
	v_mul_hi_u32 v11, v3, v10
	s_nop 0
	v_addc_co_u32_e32 v6, vcc, v7, v12, vcc
	v_mul_lo_u32 v8, v3, v10
	s_nop 0
	v_addc_co_u32_e32 v9, vcc, 0, v11, vcc
	v_mov_b32_e32 v7, v2
	v_lshl_add_u64 v[6:7], v[6:7], 0, v[8:9]
	v_add_co_u32_e32 v1, vcc, v1, v6
	v_mul_hi_u32 v8, v4, v1
	s_nop 0
	v_addc_co_u32_e32 v3, vcc, v3, v7, vcc
	v_mad_u64_u32 v[6:7], s[2:3], v4, v3, 0
	v_mov_b32_e32 v9, v2
	v_lshl_add_u64 v[6:7], v[8:9], 0, v[6:7]
	v_mad_u64_u32 v[10:11], s[2:3], v5, v1, 0
	v_add_co_u32_e32 v1, vcc, v6, v10
	v_mad_u64_u32 v[8:9], s[2:3], v5, v3, 0
	s_nop 0
	v_addc_co_u32_e32 v6, vcc, v7, v11, vcc
	v_mov_b32_e32 v7, v2
	s_nop 0
	v_addc_co_u32_e32 v9, vcc, 0, v9, vcc
	v_lshl_add_u64 v[6:7], v[6:7], 0, v[8:9]
	v_mul_lo_u32 v1, s29, v6
	v_mul_lo_u32 v3, s28, v7
	v_mad_u64_u32 v[8:9], s[2:3], s28, v6, 0
	v_add3_u32 v1, v9, v3, v1
	v_sub_u32_e32 v3, v5, v1
	v_mov_b32_e32 v9, s29
	v_sub_co_u32_e32 v12, vcc, v4, v8
	v_lshl_add_u64 v[10:11], v[6:7], 0, 1
	s_nop 0
	v_subb_co_u32_e64 v3, s[2:3], v3, v9, vcc
	v_subrev_co_u32_e64 v8, s[2:3], s28, v12
	v_subb_co_u32_e32 v1, vcc, v5, v1, vcc
	s_nop 0
	v_subbrev_co_u32_e64 v3, s[2:3], 0, v3, s[2:3]
	v_cmp_le_u32_e64 s[2:3], s29, v3
	v_cmp_le_u32_e32 vcc, s29, v1
	s_nop 0
	v_cndmask_b32_e64 v9, 0, -1, s[2:3]
	v_cmp_le_u32_e64 s[2:3], s28, v8
	s_nop 1
	v_cndmask_b32_e64 v8, 0, -1, s[2:3]
	v_cmp_eq_u32_e64 s[2:3], s29, v3
	s_nop 1
	v_cndmask_b32_e64 v3, v9, v8, s[2:3]
	v_lshl_add_u64 v[8:9], v[6:7], 0, 2
	v_cmp_ne_u32_e64 s[2:3], 0, v3
	s_nop 1
	v_cndmask_b32_e64 v3, v11, v9, s[2:3]
	v_cndmask_b32_e64 v9, 0, -1, vcc
	v_cmp_le_u32_e32 vcc, s28, v12
	s_nop 1
	v_cndmask_b32_e64 v11, 0, -1, vcc
	v_cmp_eq_u32_e32 vcc, s29, v1
	s_nop 1
	v_cndmask_b32_e32 v1, v9, v11, vcc
	v_cmp_ne_u32_e32 vcc, 0, v1
	v_cndmask_b32_e64 v1, v10, v8, s[2:3]
	s_nop 0
	v_cndmask_b32_e32 v9, v7, v3, vcc
	v_cndmask_b32_e32 v8, v6, v1, vcc
.LBB0_4:                                ;   in Loop: Header=BB0_2 Depth=1
	s_andn2_saveexec_b64 s[2:3], s[30:31]
	s_cbranch_execz .LBB0_6
; %bb.5:                                ;   in Loop: Header=BB0_2 Depth=1
	v_cvt_f32_u32_e32 v1, s28
	s_sub_i32 s30, 0, s28
	v_mov_b32_e32 v9, v2
	v_rcp_iflag_f32_e32 v1, v1
	s_nop 0
	v_mul_f32_e32 v1, 0x4f7ffffe, v1
	v_cvt_u32_f32_e32 v1, v1
	v_mul_lo_u32 v3, s30, v1
	v_mul_hi_u32 v3, v1, v3
	v_add_u32_e32 v1, v1, v3
	v_mul_hi_u32 v1, v4, v1
	v_mul_lo_u32 v3, v1, s28
	v_sub_u32_e32 v3, v4, v3
	v_add_u32_e32 v6, 1, v1
	v_subrev_u32_e32 v7, s28, v3
	v_cmp_le_u32_e32 vcc, s28, v3
	s_nop 1
	v_cndmask_b32_e32 v3, v3, v7, vcc
	v_cndmask_b32_e32 v1, v1, v6, vcc
	v_add_u32_e32 v6, 1, v1
	v_cmp_le_u32_e32 vcc, s28, v3
	s_nop 1
	v_cndmask_b32_e32 v8, v1, v6, vcc
.LBB0_6:                                ;   in Loop: Header=BB0_2 Depth=1
	s_or_b64 exec, exec, s[2:3]
	v_mad_u64_u32 v[6:7], s[2:3], v8, s28, 0
	s_load_dwordx2 s[2:3], s[22:23], 0x0
	v_mul_lo_u32 v1, v9, s28
	v_mul_lo_u32 v3, v8, s29
	s_load_dwordx2 s[28:29], s[20:21], 0x0
	s_add_u32 s26, s26, 1
	v_add3_u32 v1, v7, v3, v1
	v_sub_co_u32_e32 v3, vcc, v4, v6
	s_addc_u32 s27, s27, 0
	s_nop 0
	v_subb_co_u32_e32 v1, vcc, v5, v1, vcc
	s_add_u32 s20, s20, 8
	s_waitcnt lgkmcnt(0)
	v_mul_lo_u32 v4, s2, v1
	v_mul_lo_u32 v5, s3, v3
	v_mad_u64_u32 v[68:69], s[2:3], s2, v3, v[68:69]
	s_addc_u32 s21, s21, 0
	v_add3_u32 v69, v5, v69, v4
	v_mul_lo_u32 v1, s28, v1
	v_mul_lo_u32 v4, s29, v3
	v_mad_u64_u32 v[24:25], s[2:3], s28, v3, v[24:25]
	s_add_u32 s22, s22, 8
	v_add3_u32 v25, v4, v25, v1
	s_addc_u32 s23, s23, 0
	v_mov_b64_e32 v[4:5], s[6:7]
	s_add_u32 s24, s24, 8
	v_cmp_ge_u64_e32 vcc, s[26:27], v[4:5]
	s_addc_u32 s25, s25, 0
	s_cbranch_vccnz .LBB0_9
; %bb.7:                                ;   in Loop: Header=BB0_2 Depth=1
	v_mov_b64_e32 v[4:5], v[8:9]
	s_branch .LBB0_2
.LBB0_8:
	v_mov_b64_e32 v[24:25], v[68:69]
	v_mov_b64_e32 v[8:9], v[4:5]
.LBB0_9:
	s_load_dwordx2 s[0:1], s[0:1], 0x28
	s_lshl_b64 s[6:7], s[6:7], 3
	s_add_u32 s2, s14, s6
	s_addc_u32 s3, s15, s7
                                        ; implicit-def: $vgpr4_vgpr5
                                        ; implicit-def: $vgpr2_vgpr3
                                        ; implicit-def: $vgpr108
                                        ; implicit-def: $vgpr110
                                        ; implicit-def: $vgpr111
                                        ; implicit-def: $vgpr109
                                        ; implicit-def: $vgpr43
	s_waitcnt lgkmcnt(0)
	v_cmp_gt_u64_e32 vcc, s[0:1], v[8:9]
	v_cmp_le_u64_e64 s[0:1], s[0:1], v[8:9]
	s_and_saveexec_b64 s[14:15], s[0:1]
	s_xor_b64 s[0:1], exec, s[14:15]
	s_cbranch_execz .LBB0_11
; %bb.10:
	s_mov_b32 s14, 0x4104105
	v_mul_hi_u32 v1, v0, s14
	v_mul_u32_u24_e32 v1, 63, v1
	v_sub_u32_e32 v108, v0, v1
	v_add_u32_e32 v110, 63, v108
	v_add_u32_e32 v111, 0x7e, v108
	;; [unrolled: 1-line block ×8, first 2 shown]
                                        ; implicit-def: $vgpr0
                                        ; implicit-def: $vgpr68_vgpr69
.LBB0_11:
	s_or_saveexec_b64 s[0:1], s[0:1]
                                        ; implicit-def: $vgpr80
                                        ; implicit-def: $vgpr58
                                        ; implicit-def: $vgpr50
                                        ; implicit-def: $vgpr46
                                        ; implicit-def: $vgpr38
                                        ; implicit-def: $vgpr34
                                        ; implicit-def: $vgpr32
                                        ; implicit-def: $vgpr74
                                        ; implicit-def: $vgpr54
                                        ; implicit-def: $vgpr30
                                        ; implicit-def: $vgpr16
                                        ; implicit-def: $vgpr70
                                        ; implicit-def: $vgpr52
                                        ; implicit-def: $vgpr22
                                        ; implicit-def: $vgpr66
                                        ; implicit-def: $vgpr48
                                        ; implicit-def: $vgpr62
                                        ; implicit-def: $vgpr44
                                        ; implicit-def: $vgpr14
                                        ; implicit-def: $vgpr12
                                        ; implicit-def: $vgpr10
                                        ; implicit-def: $vgpr6
                                        ; implicit-def: $vgpr60
                                        ; implicit-def: $vgpr42
                                        ; implicit-def: $vgpr18
                                        ; implicit-def: $vgpr20
                                        ; implicit-def: $vgpr26
                                        ; implicit-def: $vgpr28
                                        ; implicit-def: $vgpr76
                                        ; implicit-def: $vgpr56
                                        ; implicit-def: $vgpr36
                                        ; implicit-def: $vgpr78
                                        ; implicit-def: $vgpr64
                                        ; implicit-def: $vgpr40
                                        ; implicit-def: $vgpr82
                                        ; implicit-def: $vgpr72
	s_xor_b64 exec, exec, s[0:1]
	s_cbranch_execz .LBB0_13
; %bb.12:
	s_add_u32 s6, s12, s6
	s_addc_u32 s7, s13, s7
	s_load_dwordx2 s[6:7], s[6:7], 0x0
	s_mov_b32 s12, 0x4104105
	s_waitcnt lgkmcnt(0)
	v_mul_lo_u32 v1, s7, v8
	v_mul_lo_u32 v4, s6, v9
	v_mad_u64_u32 v[2:3], s[6:7], s6, v8, 0
	v_add3_u32 v3, v3, v4, v1
	v_mul_hi_u32 v1, v0, s12
	v_mul_u32_u24_e32 v1, 63, v1
	v_sub_u32_e32 v108, v0, v1
	v_lshl_add_u64 v[2:3], v[2:3], 3, s[8:9]
	v_lshl_add_u64 v[6:7], v[68:69], 3, v[2:3]
	v_add_u32_e32 v3, 0x237, v108
	v_mad_u64_u32 v[10:11], s[6:7], s18, v3, 0
	v_mov_b32_e32 v2, v11
	v_mad_u64_u32 v[2:3], s[6:7], s19, v3, v[2:3]
	v_add_u32_e32 v3, 0x46e, v108
	v_mad_u64_u32 v[12:13], s[6:7], s18, v3, 0
	v_mov_b32_e32 v11, v2
	v_mov_b32_e32 v2, v13
	v_add_u32_e32 v110, 63, v108
	v_mad_u64_u32 v[2:3], s[6:7], s19, v3, v[2:3]
	v_mad_u64_u32 v[14:15], s[6:7], s18, v110, 0
	v_mov_b32_e32 v13, v2
	v_mov_b32_e32 v2, v15
	v_mad_u64_u32 v[2:3], s[6:7], s19, v110, v[2:3]
	v_add_u32_e32 v3, 0x276, v108
	v_mad_u64_u32 v[16:17], s[6:7], s18, v3, 0
	v_mov_b32_e32 v15, v2
	v_mov_b32_e32 v2, v17
	v_mad_u64_u32 v[2:3], s[6:7], s19, v3, v[2:3]
	v_add_u32_e32 v3, 0x4ad, v108
	v_mad_u64_u32 v[18:19], s[6:7], s18, v3, 0
	v_mov_b32_e32 v17, v2
	v_mov_b32_e32 v2, v19
	v_add_u32_e32 v111, 0x7e, v108
	v_mad_u64_u32 v[2:3], s[6:7], s19, v3, v[2:3]
	v_mad_u64_u32 v[20:21], s[6:7], s18, v111, 0
	v_mov_b32_e32 v19, v2
	v_mov_b32_e32 v2, v21
	v_mad_u64_u32 v[2:3], s[6:7], s19, v111, v[2:3]
	v_add_u32_e32 v3, 0x2b5, v108
	v_mad_u64_u32 v[22:23], s[6:7], s18, v3, 0
	v_mov_b32_e32 v21, v2
	;; [unrolled: 15-line block ×3, first 2 shown]
	v_mov_b32_e32 v2, v31
	v_mad_u64_u32 v[2:3], s[6:7], s19, v3, v[2:3]
	v_add_u32_e32 v3, 0x52b, v108
	v_mad_u64_u32 v[32:33], s[6:7], s18, v3, 0
	v_mov_b32_e32 v31, v2
	v_mov_b32_e32 v2, v33
	v_mad_u64_u32 v[2:3], s[6:7], s19, v3, v[2:3]
	v_add_u32_e32 v3, 0x333, v108
	v_mad_u64_u32 v[34:35], s[6:7], s18, v3, 0
	v_mov_b32_e32 v33, v2
	;; [unrolled: 5-line block ×3, first 2 shown]
	v_mov_b32_e32 v2, v37
	v_mad_u64_u32 v[0:1], s[6:7], s18, v108, 0
	v_mad_u64_u32 v[2:3], s[6:7], s19, v3, v[2:3]
	v_mov_b32_e32 v4, v1
	v_mov_b32_e32 v37, v2
	v_add_u32_e32 v2, 0xfc, v108
	v_mad_u64_u32 v[4:5], s[6:7], s19, v108, v[4:5]
	v_mad_u64_u32 v[38:39], s[6:7], s18, v2, 0
	v_mov_b32_e32 v1, v4
	v_add_u32_e32 v3, 0x13b, v108
	v_mov_b32_e32 v4, v39
	v_mad_u64_u32 v[4:5], s[6:7], s19, v2, v[4:5]
	v_mad_u64_u32 v[40:41], s[6:7], s18, v3, 0
	v_mov_b32_e32 v39, v4
	v_mov_b32_e32 v4, v41
	v_mad_u64_u32 v[4:5], s[6:7], s19, v3, v[4:5]
	v_add_u32_e32 v5, 0x372, v108
	v_mad_u64_u32 v[44:45], s[6:7], s18, v5, 0
	v_mov_b32_e32 v41, v4
	v_mov_b32_e32 v4, v45
	v_mad_u64_u32 v[4:5], s[6:7], s19, v5, v[4:5]
	v_add_u32_e32 v5, 0x5a9, v108
	;; [unrolled: 5-line block ×4, first 2 shown]
	v_mad_u64_u32 v[50:51], s[6:7], s18, v5, 0
	v_mov_b32_e32 v49, v4
	v_mov_b32_e32 v4, v51
	v_mad_u64_u32 v[4:5], s[6:7], s19, v5, v[4:5]
	v_mov_b32_e32 v51, v4
	v_add_u32_e32 v4, 0x17a, v108
	v_mad_u64_u32 v[52:53], s[6:7], s18, v4, 0
	v_add_u32_e32 v5, 0x1b9, v108
	v_mov_b32_e32 v42, v53
	v_mad_u64_u32 v[42:43], s[6:7], s19, v4, v[42:43]
	v_mad_u64_u32 v[54:55], s[6:7], s18, v5, 0
	v_mov_b32_e32 v53, v42
	v_mov_b32_e32 v42, v55
	v_mad_u64_u32 v[42:43], s[6:7], s19, v5, v[42:43]
	v_add_u32_e32 v43, 0x3f0, v108
	v_mad_u64_u32 v[56:57], s[6:7], s18, v43, 0
	v_mov_b32_e32 v55, v42
	v_mov_b32_e32 v42, v57
	v_mad_u64_u32 v[42:43], s[6:7], s19, v43, v[42:43]
	v_add_u32_e32 v43, 0x627, v108
	;; [unrolled: 5-line block ×4, first 2 shown]
	v_mov_b32_e32 v61, v62
	v_mad_u64_u32 v[62:63], s[6:7], s18, v64, 0
	v_mov_b32_e32 v42, v63
	v_mad_u64_u32 v[64:65], s[6:7], s19, v64, v[42:43]
	v_add_u32_e32 v66, 0x666, v108
	v_mov_b32_e32 v63, v64
	v_mad_u64_u32 v[64:65], s[6:7], s18, v66, 0
	v_mov_b32_e32 v42, v65
	v_mad_u64_u32 v[66:67], s[6:7], s19, v66, v[42:43]
	v_mov_b32_e32 v65, v66
	v_lshl_add_u64 v[0:1], v[0:1], 3, v[6:7]
	v_lshl_add_u64 v[10:11], v[10:11], 3, v[6:7]
	;; [unrolled: 1-line block ×27, first 2 shown]
	global_load_dwordx2 v[80:81], v[0:1], off
	global_load_dwordx2 v[50:51], v[10:11], off
	;; [unrolled: 1-line block ×15, first 2 shown]
                                        ; kill: killed $vgpr86_vgpr87
                                        ; kill: killed $vgpr14_vgpr15
                                        ; kill: killed $vgpr20_vgpr21
                                        ; kill: killed $vgpr66_vgpr67
                                        ; kill: killed $vgpr68_vgpr69
                                        ; kill: killed $vgpr22_vgpr23
                                        ; kill: killed $vgpr0_vgpr1
                                        ; kill: killed $vgpr18_vgpr19
                                        ; kill: killed $vgpr70_vgpr71
                                        ; kill: killed $vgpr26_vgpr27
                                        ; kill: killed $vgpr88_vgpr89
                                        ; kill: killed $vgpr10_vgpr11
                                        ; kill: killed $vgpr72_vgpr73
                                        ; kill: killed $vgpr12_vgpr13
                                        ; kill: killed $vgpr84_vgpr85
	s_nop 0
	global_load_dwordx2 v[70:71], v[90:91], off
	global_load_dwordx2 v[22:23], v[44:45], off
	;; [unrolled: 1-line block ×12, first 2 shown]
	s_waitcnt vmcnt(26)
	v_mov_b32_e32 v58, v81
	s_waitcnt vmcnt(23)
	v_mov_b32_e32 v72, v83
	;; [unrolled: 2-line block ×9, first 2 shown]
.LBB0_13:
	s_or_b64 exec, exec, s[0:1]
	v_pk_add_f32 v[0:1], v[50:51], v[46:47]
	v_mov_b32_e32 v100, v50
	v_mul_f32_e32 v101, 0.5, v0
	v_pk_add_f32 v[96:97], v[50:51], v[46:47] neg_lo:[0,1] neg_hi:[0,1]
	v_pk_add_f32 v[98:99], v[38:39], v[40:41]
	v_pk_add_f32 v[94:95], v[34:35], v[32:33]
	v_pk_add_f32 v[126:127], v[80:81], v[100:101] op_sel_hi:[0,1] neg_lo:[0,1] neg_hi:[0,1]
	v_pk_add_f32 v[80:81], v[80:81], v[50:51]
	v_mul_f32_e32 v105, 0x3f5db3d7, v97
	v_mul_f32_e32 v107, 0.5, v98
	v_mul_f32_e32 v115, 0.5, v94
	v_mov_b32_e32 v81, v127
	v_mov_b32_e32 v104, v46
	;; [unrolled: 1-line block ×4, first 2 shown]
	v_pk_add_f32 v[92:93], v[38:39], v[40:41] neg_lo:[0,1] neg_hi:[0,1]
	v_pk_add_f32 v[86:87], v[34:35], v[32:33] neg_lo:[0,1] neg_hi:[0,1]
	v_pk_add_f32 v[88:89], v[30:31], v[36:37]
	v_pk_add_f32 v[80:81], v[80:81], v[104:105]
	v_pk_add_f32 v[104:105], v[82:83], v[106:107] op_sel_hi:[0,1] neg_lo:[0,1] neg_hi:[0,1]
	v_pk_add_f32 v[82:83], v[82:83], v[38:39]
	v_pk_add_f32 v[106:107], v[78:79], v[114:115] op_sel_hi:[0,1] neg_lo:[0,1] neg_hi:[0,1]
	v_pk_add_f32 v[78:79], v[78:79], v[34:35]
	v_mul_f32_e32 v117, 0x3f5db3d7, v87
	v_mul_f32_e32 v119, 0.5, v88
	v_mad_u32_u24 v88, v108, 12, 0
	v_fmac_f32_e32 v127, 0xbf5db3d7, v97
	v_mov_b32_e32 v83, v105
	v_mad_i32_i24 v49, v110, 12, 0
	v_fmac_f32_e32 v105, 0xbf5db3d7, v93
	v_mov_b32_e32 v79, v107
	v_mov_b32_e32 v116, v32
	;; [unrolled: 1-line block ×3, first 2 shown]
	v_mul_f32_e32 v113, 0x3f5db3d7, v93
	v_pk_add_f32 v[84:85], v[36:37], v[30:31] neg_lo:[0,1] neg_hi:[0,1]
	v_pk_add_f32 v[90:91], v[16:17], v[28:29]
	v_pk_add_f32 v[100:101], v[22:23], v[26:27]
	ds_write2_b32 v88, v80, v81 offset1:1
	ds_write_b32 v88, v127 offset:8
	v_mov_b32_e32 v112, v40
	ds_write_b32 v49, v105 offset:8
	v_pk_add_f32 v[104:105], v[18:19], v[20:21]
	v_pk_add_f32 v[78:79], v[116:117], v[78:79]
	v_pk_add_f32 v[116:117], v[74:75], v[118:119] op_sel_hi:[0,1] neg_lo:[0,1] neg_hi:[0,1]
	v_pk_add_f32 v[74:75], v[74:75], v[36:37]
	v_mul_f32_e32 v121, 0x3f5db3d7, v85
	v_mul_f32_e32 v123, 0.5, v90
	v_mul_f32_e32 v129, 0.5, v100
	v_pk_add_f32 v[82:83], v[112:113], v[82:83]
	v_mul_f32_e32 v113, 0.5, v104
	v_mad_i32_i24 v65, v111, 12, 0
	v_fmac_f32_e32 v107, 0xbf5db3d7, v87
	v_mov_b32_e32 v75, v117
	v_mov_b32_e32 v120, v30
	v_mad_i32_i24 v32, v109, 12, 0
	v_fmac_f32_e32 v117, 0xbf5db3d7, v85
	v_mov_b32_e32 v122, v28
	v_mov_b32_e32 v128, v22
	;; [unrolled: 1-line block ×3, first 2 shown]
	v_pk_add_f32 v[68:69], v[28:29], v[16:17] neg_lo:[0,1] neg_hi:[0,1]
	v_pk_add_f32 v[80:81], v[22:23], v[26:27] neg_lo:[0,1] neg_hi:[0,1]
	ds_write2_b32 v49, v82, v83 offset1:1
	ds_write2_b32 v65, v78, v79 offset1:1
	v_pk_add_f32 v[78:79], v[20:21], v[18:19] neg_lo:[0,1] neg_hi:[0,1]
	ds_write_b32 v65, v107 offset:8
	v_pk_add_f32 v[74:75], v[120:121], v[74:75]
	ds_write_b32 v32, v117 offset:8
	v_pk_add_f32 v[116:117], v[76:77], v[122:123] op_sel_hi:[0,1] neg_lo:[0,1] neg_hi:[0,1]
	v_pk_add_f32 v[76:77], v[76:77], v[28:29]
	v_pk_add_f32 v[120:121], v[70:71], v[128:129] op_sel_hi:[0,1] neg_lo:[0,1] neg_hi:[0,1]
	v_pk_add_f32 v[70:71], v[70:71], v[22:23]
	;; [unrolled: 2-line block ×3, first 2 shown]
	v_mul_f32_e32 v125, 0x3f5db3d7, v69
	v_mul_f32_e32 v83, 0x3f5db3d7, v81
	v_mul_f32_e32 v115, 0x3f5db3d7, v79
	s_waitcnt vmcnt(2)
	v_pk_add_f32 v[106:107], v[14:15], v[12:13]
	v_mov_b32_e32 v77, v117
	v_mov_b32_e32 v124, v16
	;; [unrolled: 1-line block ×6, first 2 shown]
	v_lshlrev_b32_e32 v0, 3, v108
	ds_write2_b32 v32, v74, v75 offset1:1
	v_mul_f32_e32 v75, 0.5, v106
	v_pk_add_f32 v[118:119], v[124:125], v[76:77]
	v_mad_i32_i24 v100, v2, 12, 0
	v_fmac_f32_e32 v117, 0xbf5db3d7, v69
	v_pk_add_f32 v[70:71], v[70:71], v[82:83]
	v_mad_i32_i24 v104, v3, 12, 0
	v_fmac_f32_e32 v121, 0xbf5db3d7, v81
	v_pk_add_f32 v[66:67], v[114:115], v[66:67]
	v_mad_i32_i24 v106, v4, 12, 0
	v_mov_b32_e32 v74, v14
	v_sub_u32_e32 v18, v88, v0
	v_lshlrev_b32_e32 v0, 3, v2
	s_load_dwordx2 s[6:7], s[2:3], 0x0
	v_pk_add_f32 v[76:77], v[14:15], v[12:13] neg_lo:[0,1] neg_hi:[0,1]
	ds_write2_b32 v100, v118, v119 offset1:1
	ds_write_b32 v100, v117 offset:8
	ds_write2_b32 v104, v70, v71 offset1:1
	ds_write_b32 v104, v121 offset:8
	v_fmac_f32_e32 v113, 0xbf5db3d7, v79
	ds_write2_b32 v106, v66, v67 offset1:1
	ds_write_b32 v106, v113 offset:8
	v_pk_add_f32 v[66:67], v[62:63], v[14:15]
	v_pk_add_f32 v[62:63], v[62:63], v[74:75] op_sel_hi:[0,1] neg_lo:[0,1] neg_hi:[0,1]
	v_sub_u32_e32 v30, v100, v0
	v_lshlrev_b32_e32 v0, 3, v3
	v_mul_f32_e32 v1, 0.5, v1
	v_mul_f32_e32 v119, 0x3f5db3d7, v77
	s_waitcnt vmcnt(0)
	v_pk_add_f32 v[116:117], v[10:11], v[6:7]
	v_mov_b32_e32 v67, v63
	v_mov_b32_e32 v118, v12
	v_sub_u32_e32 v34, v104, v0
	v_mov_b32_e32 v0, v51
	v_mul_f32_e32 v71, 0.5, v116
	v_mad_i32_i24 v116, v5, 12, 0
	v_pk_add_f32 v[66:67], v[66:67], v[118:119]
	v_fmac_f32_e32 v63, 0xbf5db3d7, v77
	v_mov_b32_e32 v70, v10
	v_pk_add_f32 v[112:113], v[58:59], v[0:1] op_sel_hi:[0,1] neg_lo:[0,1] neg_hi:[0,1]
	v_lshlrev_b32_e32 v0, 3, v4
	v_pk_add_f32 v[82:83], v[10:11], v[6:7] neg_lo:[0,1] neg_hi:[0,1]
	ds_write2_b32 v116, v66, v67 offset1:1
	ds_write_b32 v116, v63 offset:8
	v_pk_add_f32 v[62:63], v[60:61], v[10:11]
	v_pk_add_f32 v[60:61], v[60:61], v[70:71] op_sel_hi:[0,1] neg_lo:[0,1] neg_hi:[0,1]
	v_mov_b32_e32 v10, v51
	v_sub_u32_e32 v36, v106, v0
	v_lshlrev_b32_e32 v0, 3, v5
	v_mul_f32_e32 v103, 0x3f5db3d7, v96
	v_mul_f32_e32 v115, 0x3f5db3d7, v83
	v_mov_b32_e32 v63, v61
	v_mov_b32_e32 v114, v6
	v_lshlrev_b32_e32 v20, 3, v110
	v_pk_add_f32 v[50:51], v[58:59], v[10:11] op_sel_hi:[0,1]
	v_sub_u32_e32 v73, v116, v0
	v_mov_b32_e32 v102, v47
	v_mov_b32_e32 v0, v47
	v_mad_i32_i24 v118, v43, 12, 0
	v_pk_add_f32 v[62:63], v[114:115], v[62:63]
	v_fmac_f32_e32 v61, 0xbf5db3d7, v83
	v_sub_u32_e32 v38, v49, v20
	v_lshlrev_b32_e32 v22, 3, v111
	v_lshlrev_b32_e32 v45, 3, v109
	v_pk_add_f32 v[114:115], v[50:51], v[0:1] op_sel_hi:[1,0]
	v_lshlrev_b32_e32 v0, 3, v43
	v_pk_add_f32 v[102:103], v[112:113], v[102:103] neg_lo:[0,1] neg_hi:[0,1]
	v_fmac_f32_e32 v113, 0x3f5db3d7, v96
	ds_write2_b32 v118, v62, v63 offset1:1
	ds_write_b32 v118, v61 offset:8
	s_waitcnt lgkmcnt(0)
	; wave barrier
	s_waitcnt lgkmcnt(0)
	ds_read_b32 v6, v18
	v_add_u32_e32 v55, 0x800, v18
	v_add_u32_e32 v53, 0x1000, v18
	v_sub_u32_e32 v40, v65, v22
	v_sub_u32_e32 v28, v32, v45
	v_add_u32_e32 v69, 0x1400, v18
	v_add_u32_e32 v57, 0xc00, v18
	;; [unrolled: 1-line block ×3, first 2 shown]
	v_sub_u32_e32 v77, v118, v0
	ds_read_b32 v85, v38
	ds_read_b32 v83, v40
	;; [unrolled: 1-line block ×8, first 2 shown]
	ds_read2_b32 v[74:75], v55 offset0:55 offset1:118
	ds_read2_b32 v[0:1], v53 offset0:47 offset1:110
	;; [unrolled: 1-line block ×9, first 2 shown]
	s_waitcnt lgkmcnt(0)
	; wave barrier
	s_waitcnt lgkmcnt(0)
	ds_write2_b32 v88, v114, v103 offset1:1
	ds_write_b32 v88, v113 offset:8
	v_mul_f32_e32 v97, 0.5, v99
	v_mov_b32_e32 v96, v39
	v_mov_b32_e32 v88, v39
	v_pk_add_f32 v[98:99], v[72:73], v[88:89] op_sel_hi:[0,1]
	v_pk_add_f32 v[96:97], v[72:73], v[96:97] op_sel_hi:[0,1] neg_lo:[0,1] neg_hi:[0,1]
	v_mov_b32_e32 v72, v41
	v_mov_b32_e32 v102, v41
	v_mul_f32_e32 v103, 0x3f5db3d7, v92
	v_pk_add_f32 v[98:99], v[98:99], v[72:73] op_sel_hi:[1,0]
	v_pk_add_f32 v[102:103], v[96:97], v[102:103] neg_lo:[0,1] neg_hi:[0,1]
	v_fmac_f32_e32 v97, 0x3f5db3d7, v92
	v_mul_f32_e32 v93, 0.5, v95
	v_mov_b32_e32 v92, v35
	v_mov_b32_e32 v72, v35
	ds_write_b32 v49, v97 offset:8
	v_pk_add_f32 v[94:95], v[64:65], v[72:73] op_sel_hi:[0,1]
	v_pk_add_f32 v[92:93], v[64:65], v[92:93] op_sel_hi:[0,1] neg_lo:[0,1] neg_hi:[0,1]
	v_mov_b32_e32 v64, v33
	v_mov_b32_e32 v96, v33
	v_mul_f32_e32 v97, 0x3f5db3d7, v86
	v_pk_add_f32 v[94:95], v[94:95], v[64:65] op_sel_hi:[1,0]
	v_pk_add_f32 v[96:97], v[92:93], v[96:97] neg_lo:[0,1] neg_hi:[0,1]
	v_fmac_f32_e32 v93, 0x3f5db3d7, v86
	v_mul_f32_e32 v87, 0.5, v89
	v_mov_b32_e32 v86, v37
	v_mov_b32_e32 v64, v37
	ds_write2_b32 v49, v98, v103 offset1:1
	ds_write_b32 v65, v93 offset:8
	v_mul_f32_e32 v89, 0x3f5db3d7, v84
	v_pk_add_f32 v[92:93], v[54:55], v[64:65] op_sel_hi:[0,1]
	v_pk_add_f32 v[86:87], v[54:55], v[86:87] op_sel_hi:[0,1] neg_lo:[0,1] neg_hi:[0,1]
	v_mov_b32_e32 v88, v31
	v_mov_b32_e32 v54, v31
	v_mul_f32_e32 v91, 0.5, v91
	v_pk_add_f32 v[92:93], v[92:93], v[54:55] op_sel_hi:[1,0]
	v_pk_add_f32 v[88:89], v[86:87], v[88:89] neg_lo:[0,1] neg_hi:[0,1]
	v_fmac_f32_e32 v87, 0x3f5db3d7, v84
	v_mov_b32_e32 v54, v29
	v_mov_b32_e32 v90, v29
	ds_write2_b32 v65, v94, v97 offset1:1
	v_mul_f32_e32 v95, 0x3f5db3d7, v68
	ds_write_b32 v32, v87 offset:8
	v_pk_add_f32 v[86:87], v[56:57], v[54:55] op_sel_hi:[0,1]
	v_pk_add_f32 v[90:91], v[56:57], v[90:91] op_sel_hi:[0,1] neg_lo:[0,1] neg_hi:[0,1]
	v_mov_b32_e32 v54, v17
	v_mov_b32_e32 v94, v17
	v_mul_f32_e32 v97, 0.5, v101
	v_pk_add_f32 v[86:87], v[86:87], v[54:55] op_sel_hi:[1,0]
	v_pk_add_f32 v[94:95], v[90:91], v[94:95] neg_lo:[0,1] neg_hi:[0,1]
	v_fmac_f32_e32 v91, 0x3f5db3d7, v68
	v_mov_b32_e32 v54, v23
	v_mov_b32_e32 v96, v23
	v_mul_f32_e32 v93, 0x3f5db3d7, v80
	ds_write2_b32 v32, v92, v89 offset1:1
	ds_write2_b32 v100, v86, v95 offset1:1
	ds_write_b32 v100, v91 offset:8
	v_pk_add_f32 v[86:87], v[52:53], v[54:55] op_sel_hi:[0,1]
	v_pk_add_f32 v[90:91], v[52:53], v[96:97] op_sel_hi:[0,1] neg_lo:[0,1] neg_hi:[0,1]
	v_mov_b32_e32 v52, v27
	v_mov_b32_e32 v92, v27
	v_mul_f32_e32 v99, 0.5, v105
	v_pk_add_f32 v[86:87], v[86:87], v[52:53] op_sel_hi:[1,0]
	v_pk_add_f32 v[92:93], v[90:91], v[92:93] neg_lo:[0,1] neg_hi:[0,1]
	v_fmac_f32_e32 v91, 0x3f5db3d7, v80
	v_mov_b32_e32 v52, v21
	v_mov_b32_e32 v98, v21
	v_mul_f32_e32 v89, 0x3f5db3d7, v78
	ds_write2_b32 v104, v86, v93 offset1:1
	ds_write_b32 v104, v91 offset:8
	v_pk_add_f32 v[86:87], v[48:49], v[52:53] op_sel_hi:[0,1]
	v_pk_add_f32 v[90:91], v[48:49], v[98:99] op_sel_hi:[0,1] neg_lo:[0,1] neg_hi:[0,1]
	v_mov_b32_e32 v48, v19
	v_mov_b32_e32 v88, v19
	v_mul_f32_e32 v101, 0.5, v107
	v_pk_add_f32 v[86:87], v[86:87], v[48:49] op_sel_hi:[1,0]
	v_pk_add_f32 v[88:89], v[90:91], v[88:89] neg_lo:[0,1] neg_hi:[0,1]
	v_mov_b32_e32 v48, v15
	v_mov_b32_e32 v100, v15
	v_mul_f32_e32 v103, 0x3f5db3d7, v76
	v_fmac_f32_e32 v91, 0x3f5db3d7, v78
	ds_write2_b32 v106, v86, v89 offset1:1
	ds_write_b32 v106, v91 offset:8
	v_pk_add_f32 v[86:87], v[44:45], v[48:49] op_sel_hi:[0,1]
	v_pk_add_f32 v[88:89], v[44:45], v[100:101] op_sel_hi:[0,1] neg_lo:[0,1] neg_hi:[0,1]
	v_mov_b32_e32 v44, v13
	v_mov_b32_e32 v102, v13
	v_mul_f32_e32 v105, 0.5, v117
	v_pk_add_f32 v[86:87], v[86:87], v[44:45] op_sel_hi:[1,0]
	v_pk_add_f32 v[90:91], v[88:89], v[102:103] neg_lo:[0,1] neg_hi:[0,1]
	v_fmac_f32_e32 v89, 0x3f5db3d7, v76
	v_mov_b32_e32 v44, v11
	v_mov_b32_e32 v104, v11
	s_movk_i32 s0, 0xab
	ds_write2_b32 v116, v86, v91 offset1:1
	ds_write_b32 v116, v89 offset:8
	v_pk_add_f32 v[86:87], v[42:43], v[44:45] op_sel_hi:[0,1]
	v_pk_add_f32 v[88:89], v[42:43], v[104:105] op_sel_hi:[0,1] neg_lo:[0,1] neg_hi:[0,1]
	v_mov_b32_e32 v42, v7
	v_mov_b32_e32 v106, v7
	v_mul_lo_u16_sdwa v7, v108, s0 dst_sel:DWORD dst_unused:UNUSED_PAD src0_sel:BYTE_0 src1_sel:DWORD
	v_lshrrev_b16_e32 v7, 9, v7
	v_mul_lo_u16_e32 v11, 3, v7
	v_mul_f32_e32 v107, 0x3f5db3d7, v82
	v_sub_u16_e32 v11, v108, v11
	v_mov_b32_e32 v19, 4
	v_pk_add_f32 v[86:87], v[86:87], v[42:43] op_sel_hi:[1,0]
	v_pk_add_f32 v[90:91], v[88:89], v[106:107] neg_lo:[0,1] neg_hi:[0,1]
	v_fmac_f32_e32 v89, 0x3f5db3d7, v82
	v_lshlrev_b32_sdwa v13, v19, v11 dst_sel:DWORD dst_unused:UNUSED_PAD src0_sel:DWORD src1_sel:BYTE_0
	ds_write2_b32 v118, v86, v91 offset1:1
	ds_write_b32 v118, v89 offset:8
	s_waitcnt lgkmcnt(0)
	; wave barrier
	s_waitcnt lgkmcnt(0)
	global_load_dwordx4 v[86:89], v13, s[4:5]
	v_mul_lo_u16_sdwa v13, v110, s0 dst_sel:DWORD dst_unused:UNUSED_PAD src0_sel:BYTE_0 src1_sel:DWORD
	v_lshrrev_b16_e32 v13, 9, v13
	v_mul_lo_u16_e32 v15, 3, v13
	v_sub_u16_e32 v15, v110, v15
	v_lshlrev_b32_sdwa v17, v19, v15 dst_sel:DWORD dst_unused:UNUSED_PAD src0_sel:DWORD src1_sel:BYTE_0
	global_load_dwordx4 v[90:93], v17, s[4:5]
	v_mul_lo_u16_sdwa v17, v111, s0 dst_sel:DWORD dst_unused:UNUSED_PAD src0_sel:BYTE_0 src1_sel:DWORD
	v_lshrrev_b16_e32 v17, 9, v17
	v_mul_lo_u16_e32 v21, 3, v17
	v_sub_u16_e32 v23, v111, v21
	v_lshlrev_b32_sdwa v21, v19, v23 dst_sel:DWORD dst_unused:UNUSED_PAD src0_sel:DWORD src1_sel:BYTE_0
	;; [unrolled: 6-line block ×3, first 2 shown]
	s_mov_b32 s0, 0xaaab
	global_load_dwordx4 v[98:101], v21, s[4:5]
	v_mul_u32_u24_sdwa v21, v2, s0 dst_sel:DWORD dst_unused:UNUSED_PAD src0_sel:WORD_0 src1_sel:DWORD
	v_lshrrev_b32_e32 v31, 17, v21
	v_mul_lo_u16_e32 v21, 3, v31
	v_sub_u16_e32 v33, v2, v21
	v_lshlrev_b32_e32 v21, 4, v33
	global_load_dwordx4 v[102:105], v21, s[4:5]
	v_mul_u32_u24_sdwa v21, v3, s0 dst_sel:DWORD dst_unused:UNUSED_PAD src0_sel:WORD_0 src1_sel:DWORD
	v_lshrrev_b32_e32 v35, 17, v21
	v_mul_lo_u16_e32 v21, 3, v35
	v_sub_u16_e32 v37, v3, v21
	v_lshlrev_b32_e32 v21, 4, v37
	;; [unrolled: 6-line block ×5, first 2 shown]
	ds_read_b32 v42, v18
	ds_read2_b32 v[106:107], v55 offset0:55 offset1:118
	ds_read2_b32 v[128:129], v53 offset0:47 offset1:110
	global_load_dwordx4 v[124:127], v21, s[4:5]
	ds_read2_b32 v[130:131], v53 offset0:173 offset1:236
	ds_read2_b32 v[132:133], v55 offset0:181 offset1:244
	s_mov_b32 s2, 0x5040100
	s_mov_b32 s0, 0xe38f
	s_movk_i32 s3, 0x3cc
	s_waitcnt vmcnt(8) lgkmcnt(3)
	v_mul_f32_e32 v21, v106, v87
	v_mul_f32_e32 v56, v74, v87
	v_fma_f32 v21, v74, v86, -v21
	v_fmac_f32_e32 v56, v106, v86
	ds_read2_b32 v[86:87], v69 offset0:43 offset1:106
	s_waitcnt lgkmcnt(3)
	v_mul_f32_e32 v64, v129, v89
	s_waitcnt vmcnt(7)
	v_mul_f32_e32 v68, v107, v91
	v_fma_f32 v68, v75, v90, -v68
	v_mul_f32_e32 v72, v75, v91
	ds_read2_b32 v[74:75], v57 offset0:51 offset1:114
	v_fmac_f32_e32 v72, v107, v90
	ds_read2_b32 v[90:91], v79 offset0:39 offset1:102
	s_waitcnt lgkmcnt(4)
	v_mul_f32_e32 v76, v130, v93
	v_mul_f32_e32 v78, v70, v93
	v_fma_f32 v64, v1, v88, -v64
	v_mul_f32_e32 v1, v1, v89
	v_fmac_f32_e32 v1, v129, v88
	v_fma_f32 v76, v70, v92, -v76
	v_fmac_f32_e32 v78, v130, v92
	s_waitcnt vmcnt(5) lgkmcnt(2)
	v_mul_f32_e32 v93, v86, v101
	v_fma_f32 v93, v62, v100, -v93
	v_mul_f32_e32 v62, v62, v101
	v_fmac_f32_e32 v62, v86, v100
	v_mul_f32_e32 v84, v132, v95
	v_mul_f32_e32 v92, v133, v99
	s_waitcnt vmcnt(4) lgkmcnt(1)
	v_mul_f32_e32 v86, v74, v103
	v_fma_f32 v86, v60, v102, -v86
	v_mul_f32_e32 v60, v60, v103
	v_fmac_f32_e32 v60, v74, v102
	v_mul_f32_e32 v74, v87, v105
	v_add_f32_e32 v103, v21, v64
	v_fma_f32 v74, v63, v104, -v74
	v_mul_f32_e32 v63, v63, v105
	v_fmac_f32_e32 v63, v87, v104
	v_mul_f32_e32 v70, v131, v97
	v_mul_f32_e32 v82, v71, v97
	v_fma_f32 v84, v66, v94, -v84
	v_mul_f32_e32 v66, v66, v95
	v_fma_f32 v92, v67, v98, -v92
	v_mul_f32_e32 v67, v67, v99
	ds_read2_b32 v[88:89], v69 offset0:169 offset1:232
	v_fma_f32 v80, v71, v96, -v70
	ds_read2_b32 v[70:71], v57 offset0:177 offset1:240
	v_fmac_f32_e32 v82, v131, v96
	v_fmac_f32_e32 v66, v132, v94
	;; [unrolled: 1-line block ×3, first 2 shown]
	ds_read_b32 v87, v38
	ds_read_b32 v94, v40
	ds_read_b32 v95, v28
	ds_read_b32 v96, v30
	ds_read_b32 v97, v34
	ds_read_b32 v98, v36
	ds_read_b32 v99, v73
	ds_read_b32 v100, v77
	s_waitcnt vmcnt(3)
	v_mul_f32_e32 v101, v75, v113
	v_fma_f32 v101, v61, v112, -v101
	v_mul_f32_e32 v61, v61, v113
	v_fmac_f32_e32 v61, v75, v112
	s_waitcnt vmcnt(0) lgkmcnt(10)
	v_mul_f32_e32 v102, v91, v127
	v_fma_f32 v102, v47, v126, -v102
	v_mul_f32_e32 v47, v47, v127
	v_fmac_f32_e32 v47, v91, v126
	v_add_f32_e32 v91, v6, v21
	v_fmac_f32_e32 v6, -0.5, v103
	v_sub_f32_e32 v103, v56, v1
	v_fmamk_f32 v104, v103, 0x3f5db3d7, v6
	v_fmac_f32_e32 v6, 0xbf5db3d7, v103
	v_add_f32_e32 v103, v42, v56
	v_add_f32_e32 v103, v103, v1
	;; [unrolled: 1-line block ×3, first 2 shown]
	v_fmac_f32_e32 v42, -0.5, v1
	v_sub_f32_e32 v1, v21, v64
	v_add_f32_e32 v21, v68, v76
	v_fmamk_f32 v56, v1, 0xbf5db3d7, v42
	v_fmac_f32_e32 v42, 0x3f5db3d7, v1
	v_add_f32_e32 v1, v85, v68
	v_fmac_f32_e32 v85, -0.5, v21
	v_sub_f32_e32 v21, v72, v78
	v_add_f32_e32 v91, v91, v64
	v_fmamk_f32 v64, v21, 0x3f5db3d7, v85
	v_fmac_f32_e32 v85, 0xbf5db3d7, v21
	s_waitcnt lgkmcnt(7)
	v_add_f32_e32 v21, v87, v72
	v_add_f32_e32 v105, v21, v78
	;; [unrolled: 1-line block ×3, first 2 shown]
	v_fmac_f32_e32 v87, -0.5, v21
	v_sub_f32_e32 v21, v68, v76
	v_fmamk_f32 v68, v21, 0xbf5db3d7, v87
	v_fmac_f32_e32 v87, 0x3f5db3d7, v21
	v_add_f32_e32 v21, v83, v84
	v_add_f32_e32 v72, v21, v80
	;; [unrolled: 1-line block ×3, first 2 shown]
	v_fmac_f32_e32 v83, -0.5, v21
	v_sub_f32_e32 v21, v66, v82
	v_add_f32_e32 v1, v1, v76
	v_fmamk_f32 v76, v21, 0x3f5db3d7, v83
	v_fmac_f32_e32 v83, 0xbf5db3d7, v21
	s_waitcnt lgkmcnt(6)
	v_add_f32_e32 v21, v94, v66
	v_add_f32_e32 v78, v21, v82
	;; [unrolled: 1-line block ×3, first 2 shown]
	v_fmac_f32_e32 v94, -0.5, v21
	v_sub_f32_e32 v21, v84, v80
	v_fmamk_f32 v80, v21, 0xbf5db3d7, v94
	v_fmac_f32_e32 v94, 0x3f5db3d7, v21
	v_add_f32_e32 v21, v81, v92
	v_add_f32_e32 v66, v21, v93
	;; [unrolled: 1-line block ×3, first 2 shown]
	v_fmac_f32_e32 v81, -0.5, v21
	v_sub_f32_e32 v21, v67, v62
	v_fmamk_f32 v82, v21, 0x3f5db3d7, v81
	v_fmac_f32_e32 v81, 0xbf5db3d7, v21
	s_waitcnt lgkmcnt(5)
	v_add_f32_e32 v21, v95, v67
	v_add_f32_e32 v84, v21, v62
	;; [unrolled: 1-line block ×3, first 2 shown]
	v_fmac_f32_e32 v95, -0.5, v21
	v_sub_f32_e32 v21, v92, v93
	v_fmamk_f32 v92, v21, 0xbf5db3d7, v95
	v_fmac_f32_e32 v95, 0x3f5db3d7, v21
	v_add_f32_e32 v21, v26, v86
	v_add_f32_e32 v62, v21, v74
	;; [unrolled: 1-line block ×3, first 2 shown]
	v_fmac_f32_e32 v26, -0.5, v21
	v_sub_f32_e32 v21, v60, v63
	v_fmamk_f32 v67, v21, 0x3f5db3d7, v26
	v_fmac_f32_e32 v26, 0xbf5db3d7, v21
	s_waitcnt lgkmcnt(4)
	v_add_f32_e32 v21, v96, v60
	v_add_f32_e32 v93, v21, v63
	v_add_f32_e32 v21, v60, v63
	v_mul_f32_e32 v75, v88, v115
	v_fmac_f32_e32 v96, -0.5, v21
	v_sub_f32_e32 v21, v86, v74
	v_fma_f32 v75, v58, v114, -v75
	v_mul_f32_e32 v58, v58, v115
	v_fmamk_f32 v60, v21, 0xbf5db3d7, v96
	v_fmac_f32_e32 v96, 0x3f5db3d7, v21
	v_add_f32_e32 v21, v16, v101
	v_fmac_f32_e32 v58, v88, v114
	v_add_f32_e32 v63, v21, v75
	v_add_f32_e32 v21, v101, v75
	v_fmac_f32_e32 v16, -0.5, v21
	v_sub_f32_e32 v21, v61, v58
	v_mul_f32_e32 v88, v70, v117
	v_fmamk_f32 v74, v21, 0x3f5db3d7, v16
	v_fmac_f32_e32 v16, 0xbf5db3d7, v21
	s_waitcnt lgkmcnt(3)
	v_add_f32_e32 v21, v97, v61
	v_fma_f32 v88, v50, v116, -v88
	v_mul_f32_e32 v50, v50, v117
	v_add_f32_e32 v86, v21, v58
	v_add_f32_e32 v21, v61, v58
	v_fmac_f32_e32 v50, v70, v116
	v_mul_f32_e32 v70, v89, v119
	v_fmac_f32_e32 v97, -0.5, v21
	v_sub_f32_e32 v21, v101, v75
	v_fma_f32 v70, v59, v118, -v70
	v_mul_f32_e32 v59, v59, v119
	v_fmamk_f32 v58, v21, 0xbf5db3d7, v97
	v_fmac_f32_e32 v97, 0x3f5db3d7, v21
	v_add_f32_e32 v21, v14, v88
	v_fmac_f32_e32 v59, v89, v118
	v_add_f32_e32 v61, v21, v70
	v_add_f32_e32 v21, v88, v70
	v_fmac_f32_e32 v14, -0.5, v21
	v_sub_f32_e32 v21, v50, v59
	v_mul_f32_e32 v89, v71, v121
	v_fmamk_f32 v75, v21, 0x3f5db3d7, v14
	v_fmac_f32_e32 v14, 0xbf5db3d7, v21
	s_waitcnt lgkmcnt(2)
	v_add_f32_e32 v21, v98, v50
	v_fma_f32 v89, v51, v120, -v89
	v_mul_f32_e32 v51, v51, v121
	v_add_f32_e32 v101, v21, v59
	v_add_f32_e32 v21, v50, v59
	v_fmac_f32_e32 v51, v71, v120
	v_mul_f32_e32 v71, v90, v123
	v_fmac_f32_e32 v98, -0.5, v21
	v_sub_f32_e32 v21, v88, v70
	v_fma_f32 v71, v46, v122, -v71
	v_mul_f32_e32 v46, v46, v123
	v_fmamk_f32 v59, v21, 0xbf5db3d7, v98
	v_fmac_f32_e32 v98, 0x3f5db3d7, v21
	v_add_f32_e32 v21, v12, v89
	v_fmac_f32_e32 v46, v90, v122
	v_add_f32_e32 v50, v21, v71
	v_add_f32_e32 v21, v89, v71
	v_fmac_f32_e32 v12, -0.5, v21
	v_sub_f32_e32 v21, v51, v46
	v_fmamk_f32 v70, v21, 0x3f5db3d7, v12
	v_fmac_f32_e32 v12, 0xbf5db3d7, v21
	s_waitcnt lgkmcnt(1)
	v_add_f32_e32 v21, v99, v51
	v_mul_f32_e32 v90, v128, v125
	v_add_f32_e32 v88, v21, v46
	v_add_f32_e32 v21, v51, v46
	v_fma_f32 v90, v0, v124, -v90
	v_fmac_f32_e32 v99, -0.5, v21
	v_sub_f32_e32 v21, v89, v71
	v_mul_f32_e32 v0, v0, v125
	v_fmamk_f32 v71, v21, 0xbf5db3d7, v99
	v_fmac_f32_e32 v99, 0x3f5db3d7, v21
	v_add_f32_e32 v21, v10, v90
	v_fmac_f32_e32 v0, v128, v124
	v_add_f32_e32 v46, v21, v102
	v_add_f32_e32 v21, v90, v102
	v_fmac_f32_e32 v10, -0.5, v21
	v_sub_f32_e32 v21, v0, v47
	v_fmamk_f32 v51, v21, 0x3f5db3d7, v10
	v_fmac_f32_e32 v10, 0xbf5db3d7, v21
	s_waitcnt lgkmcnt(0)
	v_add_f32_e32 v21, v100, v0
	v_add_f32_e32 v0, v0, v47
	;; [unrolled: 1-line block ×3, first 2 shown]
	v_fmac_f32_e32 v100, -0.5, v0
	v_sub_f32_e32 v0, v90, v102
	v_mov_b32_e32 v21, 2
	v_fmamk_f32 v90, v0, 0xbf5db3d7, v100
	v_fmac_f32_e32 v100, 0x3f5db3d7, v0
	v_mul_u32_u24_e32 v0, 36, v7
	v_lshlrev_b32_sdwa v7, v21, v11 dst_sel:DWORD dst_unused:UNUSED_PAD src0_sel:DWORD src1_sel:BYTE_0
	v_add3_u32 v102, 0, v0, v7
	s_waitcnt lgkmcnt(0)
	; wave barrier
	ds_write2_b32 v102, v91, v104 offset1:3
	ds_write_b32 v102, v6 offset:24
	v_mul_u32_u24_e32 v0, 36, v13
	v_lshlrev_b32_sdwa v6, v21, v15 dst_sel:DWORD dst_unused:UNUSED_PAD src0_sel:DWORD src1_sel:BYTE_0
	v_add3_u32 v15, 0, v0, v6
	ds_write2_b32 v15, v1, v64 offset1:3
	ds_write_b32 v15, v85 offset:24
	v_mul_u32_u24_e32 v0, 36, v17
	v_lshlrev_b32_sdwa v1, v21, v23 dst_sel:DWORD dst_unused:UNUSED_PAD src0_sel:DWORD src1_sel:BYTE_0
	v_add3_u32 v17, 0, v0, v1
	v_mul_u32_u24_e32 v0, 36, v27
	v_lshlrev_b32_sdwa v1, v21, v29 dst_sel:DWORD dst_unused:UNUSED_PAD src0_sel:DWORD src1_sel:BYTE_0
	v_add3_u32 v23, 0, v0, v1
	v_perm_b32 v0, v35, v31, s2
	v_pk_mul_lo_u16 v0, v0, 36 op_sel_hi:[1,0]
	v_lshlrev_b32_e32 v6, 2, v33
	v_and_b32_e32 v1, 0xfffc, v0
	v_add3_u32 v29, 0, v1, v6
	v_lshrrev_b32_e32 v0, 16, v0
	v_lshlrev_b32_e32 v1, 2, v37
	v_add3_u32 v31, 0, v0, v1
	v_perm_b32 v0, v44, v39, s2
	v_pk_mul_lo_u16 v0, v0, 36 op_sel_hi:[1,0]
	v_lshlrev_b32_e32 v6, 2, v41
	v_and_b32_e32 v1, 0xfffc, v0
	ds_write2_b32 v17, v72, v76 offset1:3
	ds_write_b32 v17, v83 offset:24
	ds_write2_b32 v23, v66, v82 offset1:3
	ds_write_b32 v23, v81 offset:24
	;; [unrolled: 2-line block ×4, first 2 shown]
	v_add3_u32 v16, 0, v1, v6
	v_lshrrev_b32_e32 v0, 16, v0
	v_lshlrev_b32_e32 v1, 2, v48
	ds_write2_b32 v16, v61, v75 offset1:3
	ds_write_b32 v16, v14 offset:24
	v_add3_u32 v14, 0, v0, v1
	v_mul_u32_u24_e32 v0, 36, v52
	v_lshlrev_b32_e32 v1, 2, v54
	v_add3_u32 v33, 0, v0, v1
	ds_write2_b32 v14, v50, v70 offset1:3
	ds_write_b32 v14, v12 offset:24
	ds_write2_b32 v33, v46, v51 offset1:3
	ds_write_b32 v33, v10 offset:24
	s_waitcnt lgkmcnt(0)
	; wave barrier
	s_waitcnt lgkmcnt(0)
	ds_read_b32 v35, v18
	ds_read2_b32 v[26:27], v55 offset0:55 offset1:118
	ds_read2_b32 v[0:1], v53 offset0:47 offset1:110
	ds_read2_b32 v[46:47], v53 offset0:173 offset1:236
	ds_read2_b32 v[50:51], v55 offset0:181 offset1:244
	ds_read2_b32 v[62:63], v69 offset0:43 offset1:106
	ds_read2_b32 v[66:67], v57 offset0:51 offset1:114
	ds_read2_b32 v[12:13], v69 offset0:169 offset1:232
	ds_read2_b32 v[10:11], v57 offset0:177 offset1:240
	ds_read2_b32 v[6:7], v79 offset0:39 offset1:102
	ds_read_b32 v37, v38
	ds_read_b32 v39, v40
	;; [unrolled: 1-line block ×8, first 2 shown]
	s_waitcnt lgkmcnt(0)
	; wave barrier
	s_waitcnt lgkmcnt(0)
	ds_write2_b32 v102, v103, v56 offset1:3
	ds_write_b32 v102, v42 offset:24
	ds_write2_b32 v15, v105, v68 offset1:3
	ds_write_b32 v15, v87 offset:24
	;; [unrolled: 2-line block ×9, first 2 shown]
	v_mov_b32_e32 v23, 57
	v_mul_lo_u16_sdwa v33, v110, v23 dst_sel:DWORD dst_unused:UNUSED_PAD src0_sel:BYTE_0 src1_sel:DWORD
	v_lshrrev_b16_e32 v33, 9, v33
	v_mul_lo_u16_e32 v42, 9, v33
	v_mul_lo_u16_sdwa v14, v108, v23 dst_sel:DWORD dst_unused:UNUSED_PAD src0_sel:BYTE_0 src1_sel:DWORD
	v_sub_u16_e32 v42, v110, v42
	v_lshrrev_b16_e32 v29, 9, v14
	v_lshlrev_b32_sdwa v56, v19, v42 dst_sel:DWORD dst_unused:UNUSED_PAD src0_sel:DWORD src1_sel:BYTE_0
	s_waitcnt lgkmcnt(0)
	; wave barrier
	s_waitcnt lgkmcnt(0)
	v_mul_lo_u16_e32 v14, 9, v29
	global_load_dwordx4 v[58:61], v56, s[4:5] offset:48
	v_mul_lo_u16_sdwa v56, v111, v23 dst_sel:DWORD dst_unused:UNUSED_PAD src0_sel:BYTE_0 src1_sel:DWORD
	v_sub_u16_e32 v31, v108, v14
	v_lshrrev_b16_e32 v56, 9, v56
	v_lshlrev_b32_sdwa v14, v19, v31 dst_sel:DWORD dst_unused:UNUSED_PAD src0_sel:DWORD src1_sel:BYTE_0
	v_mul_lo_u16_e32 v68, 9, v56
	global_load_dwordx4 v[14:17], v14, s[4:5] offset:48
	v_sub_u16_e32 v68, v111, v68
	v_mul_lo_u16_sdwa v23, v109, v23 dst_sel:DWORD dst_unused:UNUSED_PAD src0_sel:BYTE_0 src1_sel:DWORD
	v_lshlrev_b32_sdwa v70, v19, v68 dst_sel:DWORD dst_unused:UNUSED_PAD src0_sel:DWORD src1_sel:BYTE_0
	v_lshrrev_b16_e32 v23, 9, v23
	global_load_dwordx4 v[80:83], v70, s[4:5] offset:48
	v_mul_lo_u16_e32 v70, 9, v23
	v_sub_u16_e32 v72, v109, v70
	v_lshlrev_b32_sdwa v70, v19, v72 dst_sel:DWORD dst_unused:UNUSED_PAD src0_sel:DWORD src1_sel:BYTE_0
	global_load_dwordx4 v[84:87], v70, s[4:5] offset:48
	v_mul_u32_u24_sdwa v70, v2, s0 dst_sel:DWORD dst_unused:UNUSED_PAD src0_sel:WORD_0 src1_sel:DWORD
	v_lshrrev_b32_e32 v76, 19, v70
	v_mul_lo_u16_e32 v70, 9, v76
	v_sub_u16_e32 v78, v2, v70
	v_lshlrev_b32_e32 v70, 4, v78
	global_load_dwordx4 v[88:91], v70, s[4:5] offset:48
	v_mul_u32_u24_sdwa v70, v3, s0 dst_sel:DWORD dst_unused:UNUSED_PAD src0_sel:WORD_0 src1_sel:DWORD
	v_lshrrev_b32_e32 v114, 19, v70
	v_mul_lo_u16_e32 v70, 9, v114
	v_sub_u16_e32 v115, v3, v70
	v_lshlrev_b32_e32 v70, 4, v115
	;; [unrolled: 6-line block ×4, first 2 shown]
	v_mul_u32_u24_sdwa v104, v43, s0 dst_sel:DWORD dst_unused:UNUSED_PAD src0_sel:WORD_0 src1_sel:DWORD
	global_load_dwordx4 v[100:103], v70, s[4:5] offset:48
	v_lshrrev_b32_e32 v121, 19, v104
	v_mul_lo_u16_e32 v104, 9, v121
	v_sub_u16_e32 v122, v43, v104
	v_lshlrev_b32_e32 v104, 4, v122
	ds_read_b32 v118, v18
	ds_read2_b32 v[70:71], v55 offset0:55 offset1:118
	ds_read2_b32 v[74:75], v53 offset0:47 offset1:110
	global_load_dwordx4 v[104:107], v104, s[4:5] offset:48
	ds_read2_b32 v[112:113], v53 offset0:173 offset1:236
	s_movk_i32 s0, 0x2f69
	s_waitcnt vmcnt(8)
	v_mul_f32_e32 v125, v27, v59
	s_waitcnt lgkmcnt(2)
	v_fmac_f32_e32 v125, v71, v58
	v_mul_f32_e32 v126, v46, v61
	s_waitcnt lgkmcnt(0)
	v_fmac_f32_e32 v126, v112, v60
	s_waitcnt vmcnt(7)
	v_mul_f32_e32 v123, v70, v15
	v_mul_f32_e32 v124, v26, v15
	v_fma_f32 v123, v26, v14, -v123
	v_fmac_f32_e32 v124, v70, v14
	v_mul_f32_e32 v14, v75, v17
	v_fma_f32 v70, v1, v16, -v14
	v_mul_f32_e32 v1, v1, v17
	v_fmac_f32_e32 v1, v75, v16
	ds_read2_b32 v[14:15], v55 offset0:181 offset1:244
	ds_read2_b32 v[16:17], v69 offset0:43 offset1:106
	v_mul_f32_e32 v26, v71, v59
	v_fma_f32 v75, v27, v58, -v26
	v_mul_f32_e32 v26, v112, v61
	v_fma_f32 v71, v46, v60, -v26
	s_waitcnt vmcnt(6)
	v_mul_f32_e32 v46, v113, v83
	v_fma_f32 v112, v47, v82, -v46
	s_waitcnt lgkmcnt(1)
	v_mul_f32_e32 v46, v14, v81
	v_fma_f32 v127, v50, v80, -v46
	v_mul_f32_e32 v50, v50, v81
	ds_read2_b32 v[26:27], v57 offset0:51 offset1:114
	ds_read2_b32 v[58:59], v69 offset0:169 offset1:232
	v_fmac_f32_e32 v50, v14, v80
	s_waitcnt vmcnt(5)
	v_mul_f32_e32 v14, v15, v85
	v_fma_f32 v14, v51, v84, -v14
	v_mul_f32_e32 v51, v51, v85
	v_fmac_f32_e32 v51, v15, v84
	s_waitcnt lgkmcnt(2)
	v_mul_f32_e32 v15, v16, v87
	v_fma_f32 v15, v62, v86, -v15
	v_mul_f32_e32 v62, v62, v87
	v_fmac_f32_e32 v62, v16, v86
	s_waitcnt vmcnt(4) lgkmcnt(1)
	v_mul_f32_e32 v16, v26, v89
	v_fma_f32 v16, v66, v88, -v16
	v_mul_f32_e32 v66, v66, v89
	v_fmac_f32_e32 v66, v26, v88
	v_mul_f32_e32 v26, v17, v91
	v_fma_f32 v26, v63, v90, -v26
	v_mul_f32_e32 v63, v63, v91
	v_mul_f32_e32 v83, v47, v83
	ds_read2_b32 v[46:47], v57 offset0:177 offset1:240
	ds_read2_b32 v[60:61], v79 offset0:39 offset1:102
	v_fmac_f32_e32 v63, v17, v90
	s_waitcnt vmcnt(3)
	v_mul_f32_e32 v17, v27, v93
	v_fma_f32 v17, v67, v92, -v17
	v_mul_f32_e32 v67, v67, v93
	v_fmac_f32_e32 v67, v27, v92
	s_waitcnt lgkmcnt(2)
	v_mul_f32_e32 v27, v58, v95
	v_fma_f32 v27, v12, v94, -v27
	v_mul_f32_e32 v12, v12, v95
	v_fmac_f32_e32 v12, v58, v94
	s_waitcnt vmcnt(2) lgkmcnt(1)
	v_mul_f32_e32 v58, v46, v97
	v_fma_f32 v58, v10, v96, -v58
	v_mul_f32_e32 v10, v10, v97
	v_fmac_f32_e32 v10, v46, v96
	v_mul_f32_e32 v46, v59, v99
	v_fma_f32 v46, v13, v98, -v46
	v_mul_f32_e32 v13, v13, v99
	v_fmac_f32_e32 v13, v59, v98
	s_waitcnt vmcnt(1)
	v_mul_f32_e32 v59, v47, v101
	v_fma_f32 v59, v11, v100, -v59
	v_mul_f32_e32 v11, v11, v101
	v_fmac_f32_e32 v11, v47, v100
	s_waitcnt lgkmcnt(0)
	v_mul_f32_e32 v47, v60, v103
	v_fma_f32 v47, v6, v102, -v47
	v_mul_f32_e32 v6, v6, v103
	v_fmac_f32_e32 v6, v60, v102
	s_waitcnt vmcnt(0)
	v_mul_f32_e32 v60, v74, v105
	v_fma_f32 v60, v0, v104, -v60
	v_mul_f32_e32 v0, v0, v105
	v_fmac_f32_e32 v0, v74, v104
	v_mul_f32_e32 v74, v61, v107
	v_fma_f32 v74, v7, v106, -v74
	v_mul_f32_e32 v7, v7, v107
	v_add_f32_e32 v89, v123, v70
	v_fmac_f32_e32 v7, v61, v106
	v_add_f32_e32 v61, v35, v123
	v_fmac_f32_e32 v35, -0.5, v89
	v_sub_f32_e32 v89, v124, v1
	v_fmamk_f32 v90, v89, 0x3f5db3d7, v35
	v_fmac_f32_e32 v35, 0xbf5db3d7, v89
	v_add_f32_e32 v89, v118, v124
	v_add_f32_e32 v89, v89, v1
	;; [unrolled: 1-line block ×3, first 2 shown]
	v_fmac_f32_e32 v118, -0.5, v1
	v_sub_f32_e32 v1, v123, v70
	v_add_f32_e32 v91, v75, v71
	v_fmac_f32_e32 v83, v113, v82
	ds_read_b32 v80, v38
	ds_read_b32 v81, v40
	;; [unrolled: 1-line block ×8, first 2 shown]
	v_add_f32_e32 v61, v61, v70
	v_fmamk_f32 v70, v1, 0xbf5db3d7, v118
	v_fmac_f32_e32 v118, 0x3f5db3d7, v1
	v_add_f32_e32 v1, v37, v75
	v_fmac_f32_e32 v37, -0.5, v91
	v_sub_f32_e32 v91, v125, v126
	v_add_f32_e32 v93, v125, v126
	v_add_f32_e32 v1, v1, v71
	v_fmamk_f32 v92, v91, 0x3f5db3d7, v37
	v_fmac_f32_e32 v37, 0xbf5db3d7, v91
	s_waitcnt lgkmcnt(7)
	v_add_f32_e32 v91, v80, v125
	v_fmac_f32_e32 v80, -0.5, v93
	v_sub_f32_e32 v71, v75, v71
	v_add_f32_e32 v93, v127, v112
	v_fmamk_f32 v75, v71, 0xbf5db3d7, v80
	v_fmac_f32_e32 v80, 0x3f5db3d7, v71
	v_add_f32_e32 v71, v39, v127
	v_fmac_f32_e32 v39, -0.5, v93
	v_sub_f32_e32 v93, v50, v83
	v_fmamk_f32 v94, v93, 0x3f5db3d7, v39
	v_fmac_f32_e32 v39, 0xbf5db3d7, v93
	s_waitcnt lgkmcnt(6)
	v_add_f32_e32 v93, v81, v50
	v_add_f32_e32 v50, v50, v83
	v_fmac_f32_e32 v81, -0.5, v50
	v_sub_f32_e32 v50, v127, v112
	v_add_f32_e32 v95, v14, v15
	v_add_f32_e32 v93, v93, v83
	v_fmamk_f32 v83, v50, 0xbf5db3d7, v81
	v_fmac_f32_e32 v81, 0x3f5db3d7, v50
	v_add_f32_e32 v50, v41, v14
	v_fmac_f32_e32 v41, -0.5, v95
	v_sub_f32_e32 v95, v51, v62
	v_fmamk_f32 v96, v95, 0x3f5db3d7, v41
	v_fmac_f32_e32 v41, 0xbf5db3d7, v95
	s_waitcnt lgkmcnt(5)
	v_add_f32_e32 v95, v82, v51
	v_add_f32_e32 v51, v51, v62
	;; [unrolled: 1-line block ×3, first 2 shown]
	v_fmac_f32_e32 v82, -0.5, v51
	v_sub_f32_e32 v14, v14, v15
	v_add_f32_e32 v15, v16, v26
	v_add_f32_e32 v95, v95, v62
	v_fmamk_f32 v62, v14, 0xbf5db3d7, v82
	v_fmac_f32_e32 v82, 0x3f5db3d7, v14
	v_add_f32_e32 v14, v44, v16
	v_fmac_f32_e32 v44, -0.5, v15
	v_sub_f32_e32 v15, v66, v63
	v_fmamk_f32 v51, v15, 0x3f5db3d7, v44
	v_fmac_f32_e32 v44, 0xbf5db3d7, v15
	s_waitcnt lgkmcnt(4)
	v_add_f32_e32 v15, v84, v66
	v_add_f32_e32 v97, v15, v63
	;; [unrolled: 1-line block ×3, first 2 shown]
	v_fmac_f32_e32 v84, -0.5, v15
	v_sub_f32_e32 v15, v16, v26
	v_add_f32_e32 v16, v17, v27
	v_fmamk_f32 v63, v15, 0xbf5db3d7, v84
	v_fmac_f32_e32 v84, 0x3f5db3d7, v15
	v_add_f32_e32 v15, v48, v17
	v_fmac_f32_e32 v48, -0.5, v16
	v_sub_f32_e32 v16, v67, v12
	v_add_f32_e32 v14, v14, v26
	v_fmamk_f32 v26, v16, 0x3f5db3d7, v48
	v_fmac_f32_e32 v48, 0xbf5db3d7, v16
	s_waitcnt lgkmcnt(3)
	v_add_f32_e32 v16, v85, v67
	v_add_f32_e32 v66, v16, v12
	v_add_f32_e32 v12, v67, v12
	v_fmac_f32_e32 v85, -0.5, v12
	v_sub_f32_e32 v12, v17, v27
	v_add_f32_e32 v16, v58, v46
	v_fmamk_f32 v67, v12, 0xbf5db3d7, v85
	v_fmac_f32_e32 v85, 0x3f5db3d7, v12
	v_add_f32_e32 v12, v52, v58
	v_fmac_f32_e32 v52, -0.5, v16
	v_sub_f32_e32 v16, v10, v13
	v_fmamk_f32 v17, v16, 0x3f5db3d7, v52
	v_fmac_f32_e32 v52, 0xbf5db3d7, v16
	s_waitcnt lgkmcnt(2)
	v_add_f32_e32 v16, v86, v10
	v_add_f32_e32 v10, v10, v13
	v_add_f32_e32 v98, v16, v13
	v_fmac_f32_e32 v86, -0.5, v10
	v_sub_f32_e32 v10, v58, v46
	v_add_f32_e32 v13, v59, v47
	v_fmamk_f32 v58, v10, 0xbf5db3d7, v86
	v_fmac_f32_e32 v86, 0x3f5db3d7, v10
	v_add_f32_e32 v10, v54, v59
	v_fmac_f32_e32 v54, -0.5, v13
	v_sub_f32_e32 v13, v11, v6
	;; [unrolled: 14-line block ×3, first 2 shown]
	v_fmamk_f32 v13, v11, 0x3f5db3d7, v64
	v_fmac_f32_e32 v64, 0xbf5db3d7, v11
	s_waitcnt lgkmcnt(0)
	v_add_f32_e32 v11, v88, v0
	v_add_f32_e32 v0, v0, v7
	v_fmac_f32_e32 v88, -0.5, v0
	v_sub_f32_e32 v0, v60, v74
	v_add_f32_e32 v100, v11, v7
	v_fmamk_f32 v60, v0, 0xbf5db3d7, v88
	v_fmac_f32_e32 v88, 0x3f5db3d7, v0
	v_mul_u32_u24_e32 v0, 0x6c, v29
	v_lshlrev_b32_sdwa v7, v21, v31 dst_sel:DWORD dst_unused:UNUSED_PAD src0_sel:DWORD src1_sel:BYTE_0
	v_add3_u32 v29, 0, v0, v7
	v_mul_u32_u24_e32 v0, 0x6c, v33
	v_lshlrev_b32_sdwa v7, v21, v42 dst_sel:DWORD dst_unused:UNUSED_PAD src0_sel:DWORD src1_sel:BYTE_0
	v_add3_u32 v31, 0, v0, v7
	s_waitcnt lgkmcnt(0)
	; wave barrier
	ds_write2_b32 v29, v61, v90 offset1:9
	ds_write_b32 v29, v35 offset:72
	ds_write2_b32 v31, v1, v92 offset1:9
	ds_write_b32 v31, v37 offset:72
	v_mul_u32_u24_e32 v0, 0x6c, v56
	v_lshlrev_b32_sdwa v1, v21, v68 dst_sel:DWORD dst_unused:UNUSED_PAD src0_sel:DWORD src1_sel:BYTE_0
	v_add3_u32 v33, 0, v0, v1
	v_mul_u32_u24_e32 v0, 0x6c, v23
	v_lshlrev_b32_sdwa v1, v21, v72 dst_sel:DWORD dst_unused:UNUSED_PAD src0_sel:DWORD src1_sel:BYTE_0
	v_add3_u32 v23, 0, v0, v1
	v_mul_u32_u24_e32 v0, 0x6c, v76
	v_lshlrev_b32_e32 v1, 2, v78
	v_add3_u32 v35, 0, v0, v1
	v_mul_u32_u24_e32 v0, 0x6c, v114
	v_lshlrev_b32_e32 v1, 2, v115
	v_add_f32_e32 v71, v71, v112
	v_add3_u32 v37, 0, v0, v1
	v_mul_u32_u24_e32 v0, 0x6c, v116
	v_lshlrev_b32_e32 v1, 2, v117
	ds_write2_b32 v33, v71, v94 offset1:9
	ds_write_b32 v33, v39 offset:72
	v_add3_u32 v39, 0, v0, v1
	v_mul_u32_u24_e32 v0, 0x6c, v119
	v_lshlrev_b32_e32 v1, 2, v120
	ds_write2_b32 v23, v50, v96 offset1:9
	ds_write_b32 v23, v41 offset:72
	v_add3_u32 v41, 0, v0, v1
	v_mul_u32_u24_e32 v0, 0x6c, v121
	v_lshlrev_b32_e32 v1, 2, v122
	v_add_f32_e32 v15, v15, v27
	v_add_f32_e32 v12, v12, v46
	;; [unrolled: 1-line block ×4, first 2 shown]
	v_add3_u32 v42, 0, v0, v1
	v_add_f32_e32 v91, v91, v126
	ds_write2_b32 v35, v14, v51 offset1:9
	ds_write_b32 v35, v44 offset:72
	ds_write2_b32 v37, v15, v26 offset1:9
	ds_write_b32 v37, v48 offset:72
	ds_write2_b32 v39, v12, v17 offset1:9
	ds_write_b32 v39, v52 offset:72
	ds_write2_b32 v41, v10, v16 offset1:9
	ds_write_b32 v41, v54 offset:72
	ds_write2_b32 v42, v6, v13 offset1:9
	ds_write_b32 v42, v64 offset:72
	s_waitcnt lgkmcnt(0)
	; wave barrier
	s_waitcnt lgkmcnt(0)
	ds_read_b32 v44, v18
	ds_read2_b32 v[26:27], v55 offset0:55 offset1:118
	ds_read2_b32 v[0:1], v53 offset0:47 offset1:110
	;; [unrolled: 1-line block ×9, first 2 shown]
	ds_read_b32 v48, v38
	ds_read_b32 v52, v40
	;; [unrolled: 1-line block ×8, first 2 shown]
	s_waitcnt lgkmcnt(0)
	; wave barrier
	s_waitcnt lgkmcnt(0)
	ds_write2_b32 v29, v89, v70 offset1:9
	ds_write_b32 v29, v118 offset:72
	ds_write2_b32 v31, v91, v75 offset1:9
	ds_write_b32 v31, v80 offset:72
	;; [unrolled: 2-line block ×9, first 2 shown]
	v_mov_b32_e32 v23, 19
	v_mul_lo_u16_sdwa v29, v108, v23 dst_sel:DWORD dst_unused:UNUSED_PAD src0_sel:BYTE_0 src1_sel:DWORD
	v_lshrrev_b16_e32 v29, 9, v29
	v_mul_lo_u16_e32 v31, 27, v29
	v_sub_u16_e32 v31, v108, v31
	v_lshlrev_b32_sdwa v33, v19, v31 dst_sel:DWORD dst_unused:UNUSED_PAD src0_sel:DWORD src1_sel:BYTE_0
	s_waitcnt lgkmcnt(0)
	; wave barrier
	s_waitcnt lgkmcnt(0)
	global_load_dwordx4 v[58:61], v33, s[4:5] offset:192
	v_mul_lo_u16_sdwa v33, v110, v23 dst_sel:DWORD dst_unused:UNUSED_PAD src0_sel:BYTE_0 src1_sel:DWORD
	v_lshrrev_b16_e32 v33, 9, v33
	v_mul_lo_u16_e32 v35, 27, v33
	v_sub_u16_e32 v35, v110, v35
	v_lshlrev_b32_sdwa v37, v19, v35 dst_sel:DWORD dst_unused:UNUSED_PAD src0_sel:DWORD src1_sel:BYTE_0
	global_load_dwordx4 v[80:83], v37, s[4:5] offset:192
	v_mul_lo_u16_sdwa v37, v111, v23 dst_sel:DWORD dst_unused:UNUSED_PAD src0_sel:BYTE_0 src1_sel:DWORD
	v_lshrrev_b16_e32 v37, 9, v37
	v_mul_lo_u16_e32 v39, 27, v37
	v_sub_u16_e32 v39, v111, v39
	v_mul_lo_u16_sdwa v23, v109, v23 dst_sel:DWORD dst_unused:UNUSED_PAD src0_sel:BYTE_0 src1_sel:DWORD
	v_lshlrev_b32_sdwa v41, v19, v39 dst_sel:DWORD dst_unused:UNUSED_PAD src0_sel:DWORD src1_sel:BYTE_0
	v_lshrrev_b16_e32 v23, 9, v23
	global_load_dwordx4 v[84:87], v41, s[4:5] offset:192
	v_mul_lo_u16_e32 v41, 27, v23
	v_sub_u16_e32 v41, v109, v41
	v_lshlrev_b32_sdwa v42, v19, v41 dst_sel:DWORD dst_unused:UNUSED_PAD src0_sel:DWORD src1_sel:BYTE_0
	global_load_dwordx4 v[88:91], v42, s[4:5] offset:192
	v_mul_u32_u24_sdwa v42, v2, s0 dst_sel:DWORD dst_unused:UNUSED_PAD src0_sel:WORD_0 src1_sel:DWORD
	v_mul_u32_u24_sdwa v70, v3, s0 dst_sel:DWORD dst_unused:UNUSED_PAD src0_sel:WORD_0 src1_sel:DWORD
	v_sub_u16_sdwa v62, v2, v42 dst_sel:DWORD dst_unused:UNUSED_PAD src0_sel:DWORD src1_sel:WORD_1
	v_sub_u16_sdwa v71, v3, v70 dst_sel:DWORD dst_unused:UNUSED_PAD src0_sel:DWORD src1_sel:WORD_1
	v_lshrrev_b16_e32 v62, 1, v62
	v_lshrrev_b16_e32 v71, 1, v71
	v_add_u16_sdwa v42, v62, v42 dst_sel:DWORD dst_unused:UNUSED_PAD src0_sel:DWORD src1_sel:WORD_1
	v_add_u16_sdwa v70, v71, v70 dst_sel:DWORD dst_unused:UNUSED_PAD src0_sel:DWORD src1_sel:WORD_1
	v_lshrrev_b16_e32 v42, 4, v42
	v_lshrrev_b16_e32 v78, 4, v70
	v_mul_lo_u16_e32 v62, 27, v42
	v_mul_lo_u16_e32 v70, 27, v78
	v_sub_u16_e32 v75, v2, v62
	v_sub_u16_e32 v116, v3, v70
	v_lshlrev_b32_e32 v62, 4, v75
	v_lshlrev_b32_e32 v70, 4, v116
	global_load_dwordx4 v[92:95], v62, s[4:5] offset:192
	ds_read_b32 v76, v18
	ds_read2_b32 v[62:63], v55 offset0:55 offset1:118
	ds_read2_b32 v[66:67], v53 offset0:47 offset1:110
	global_load_dwordx4 v[96:99], v70, s[4:5] offset:192
	v_mul_u32_u24_sdwa v70, v4, s0 dst_sel:DWORD dst_unused:UNUSED_PAD src0_sel:WORD_0 src1_sel:DWORD
	v_sub_u16_sdwa v71, v4, v70 dst_sel:DWORD dst_unused:UNUSED_PAD src0_sel:DWORD src1_sel:WORD_1
	v_lshrrev_b16_e32 v71, 1, v71
	v_add_u16_sdwa v70, v71, v70 dst_sel:DWORD dst_unused:UNUSED_PAD src0_sel:DWORD src1_sel:WORD_1
	v_lshrrev_b16_e32 v117, 4, v70
	v_mul_lo_u16_e32 v70, 27, v117
	v_sub_u16_e32 v118, v4, v70
	v_mul_u32_u24_sdwa v71, v5, s0 dst_sel:DWORD dst_unused:UNUSED_PAD src0_sel:WORD_0 src1_sel:DWORD
	v_lshlrev_b32_e32 v70, 4, v118
	v_sub_u16_sdwa v104, v5, v71 dst_sel:DWORD dst_unused:UNUSED_PAD src0_sel:DWORD src1_sel:WORD_1
	global_load_dwordx4 v[100:103], v70, s[4:5] offset:192
	v_lshrrev_b16_e32 v70, 1, v104
	v_add_u16_sdwa v70, v70, v71 dst_sel:DWORD dst_unused:UNUSED_PAD src0_sel:DWORD src1_sel:WORD_1
	v_lshrrev_b16_e32 v119, 4, v70
	v_mul_lo_u16_e32 v70, 27, v119
	v_sub_u16_e32 v120, v5, v70
	v_lshlrev_b32_e32 v70, 4, v120
	global_load_dwordx4 v[104:107], v70, s[4:5] offset:192
	v_mul_u32_u24_sdwa v70, v43, s0 dst_sel:DWORD dst_unused:UNUSED_PAD src0_sel:WORD_0 src1_sel:DWORD
	v_sub_u16_sdwa v71, v43, v70 dst_sel:DWORD dst_unused:UNUSED_PAD src0_sel:DWORD src1_sel:WORD_1
	v_lshrrev_b16_e32 v71, 1, v71
	v_add_u16_sdwa v70, v71, v70 dst_sel:DWORD dst_unused:UNUSED_PAD src0_sel:DWORD src1_sel:WORD_1
	v_lshrrev_b16_e32 v121, 4, v70
	v_mul_lo_u16_e32 v70, 27, v121
	v_sub_u16_e32 v122, v43, v70
	v_lshlrev_b32_e32 v70, 4, v122
	global_load_dwordx4 v[112:115], v70, s[4:5] offset:192
	ds_read2_b32 v[70:71], v53 offset0:173 offset1:236
	s_movk_i32 s0, 0x144
	s_waitcnt vmcnt(8) lgkmcnt(2)
	v_mul_f32_e32 v123, v62, v59
	v_fma_f32 v123, v26, v58, -v123
	v_mul_f32_e32 v124, v26, v59
	s_waitcnt lgkmcnt(1)
	v_mul_f32_e32 v26, v67, v61
	v_fma_f32 v125, v1, v60, -v26
	v_mul_f32_e32 v1, v1, v61
	v_fmac_f32_e32 v124, v62, v58
	v_fmac_f32_e32 v1, v67, v60
	ds_read2_b32 v[58:59], v55 offset0:181 offset1:244
	ds_read2_b32 v[60:61], v69 offset0:43 offset1:106
	s_waitcnt vmcnt(7)
	v_mul_f32_e32 v26, v63, v81
	v_fma_f32 v67, v27, v80, -v26
	v_mul_f32_e32 v81, v27, v81
	s_waitcnt lgkmcnt(2)
	v_mul_f32_e32 v26, v70, v83
	v_fmac_f32_e32 v81, v63, v80
	v_fma_f32 v80, v46, v82, -v26
	v_mul_f32_e32 v83, v46, v83
	s_waitcnt vmcnt(6)
	v_mul_f32_e32 v46, v71, v87
	v_fmac_f32_e32 v83, v70, v82
	v_fma_f32 v82, v47, v86, -v46
	s_waitcnt lgkmcnt(1)
	v_mul_f32_e32 v46, v58, v85
	v_fma_f32 v126, v50, v84, -v46
	v_mul_f32_e32 v50, v50, v85
	ds_read2_b32 v[26:27], v57 offset0:51 offset1:114
	ds_read2_b32 v[62:63], v69 offset0:169 offset1:232
	v_fmac_f32_e32 v50, v58, v84
	s_waitcnt vmcnt(5)
	v_mul_f32_e32 v58, v59, v89
	v_fma_f32 v58, v51, v88, -v58
	v_mul_f32_e32 v51, v51, v89
	v_fmac_f32_e32 v51, v59, v88
	s_waitcnt lgkmcnt(2)
	v_mul_f32_e32 v59, v60, v91
	v_fma_f32 v59, v16, v90, -v59
	v_mul_f32_e32 v16, v16, v91
	v_fmac_f32_e32 v16, v60, v90
	v_mul_f32_e32 v87, v47, v87
	v_fmac_f32_e32 v87, v71, v86
	ds_read2_b32 v[46:47], v57 offset0:177 offset1:240
	ds_read2_b32 v[70:71], v79 offset0:39 offset1:102
	s_waitcnt vmcnt(4) lgkmcnt(3)
	v_mul_f32_e32 v60, v26, v93
	v_fma_f32 v60, v14, v92, -v60
	v_mul_f32_e32 v14, v14, v93
	v_fmac_f32_e32 v14, v26, v92
	s_waitcnt vmcnt(3)
	v_mul_f32_e32 v92, v27, v97
	v_fma_f32 v92, v15, v96, -v92
	v_mul_f32_e32 v15, v15, v97
	v_fmac_f32_e32 v15, v27, v96
	s_waitcnt lgkmcnt(2)
	v_mul_f32_e32 v27, v62, v99
	v_fma_f32 v27, v12, v98, -v27
	v_mul_f32_e32 v12, v12, v99
	v_fmac_f32_e32 v12, v62, v98
	v_mul_f32_e32 v26, v61, v95
	s_waitcnt vmcnt(2) lgkmcnt(1)
	v_mul_f32_e32 v62, v46, v101
	v_fma_f32 v62, v10, v100, -v62
	v_mul_f32_e32 v10, v10, v101
	v_fmac_f32_e32 v10, v46, v100
	v_mul_f32_e32 v46, v63, v103
	v_fma_f32 v46, v13, v102, -v46
	v_mul_f32_e32 v13, v13, v103
	v_fmac_f32_e32 v13, v63, v102
	s_waitcnt vmcnt(1)
	v_mul_f32_e32 v63, v47, v105
	v_fma_f32 v63, v11, v104, -v63
	v_mul_f32_e32 v11, v11, v105
	v_fmac_f32_e32 v11, v47, v104
	s_waitcnt lgkmcnt(0)
	v_mul_f32_e32 v47, v70, v107
	v_fma_f32 v47, v6, v106, -v47
	v_mul_f32_e32 v6, v6, v107
	v_fmac_f32_e32 v6, v70, v106
	s_waitcnt vmcnt(0)
	v_mul_f32_e32 v70, v66, v113
	v_fma_f32 v70, v0, v112, -v70
	v_mul_f32_e32 v0, v0, v113
	v_fmac_f32_e32 v0, v66, v112
	v_mul_f32_e32 v66, v71, v115
	v_fma_f32 v66, v7, v114, -v66
	v_mul_f32_e32 v7, v7, v115
	v_add_f32_e32 v93, v123, v125
	v_fma_f32 v26, v17, v94, -v26
	v_mul_f32_e32 v17, v17, v95
	v_fmac_f32_e32 v7, v71, v114
	v_add_f32_e32 v71, v44, v123
	v_fmac_f32_e32 v44, -0.5, v93
	v_sub_f32_e32 v93, v124, v1
	v_fmac_f32_e32 v17, v61, v94
	v_fmamk_f32 v94, v93, 0x3f5db3d7, v44
	v_fmac_f32_e32 v44, 0xbf5db3d7, v93
	v_add_f32_e32 v93, v76, v124
	v_add_f32_e32 v93, v93, v1
	;; [unrolled: 1-line block ×3, first 2 shown]
	v_fmac_f32_e32 v76, -0.5, v1
	v_sub_f32_e32 v1, v123, v125
	v_add_f32_e32 v96, v67, v80
	v_fmamk_f32 v95, v1, 0xbf5db3d7, v76
	v_fmac_f32_e32 v76, 0x3f5db3d7, v1
	v_add_f32_e32 v1, v48, v67
	v_fmac_f32_e32 v48, -0.5, v96
	v_sub_f32_e32 v96, v81, v83
	ds_read_b32 v61, v38
	ds_read_b32 v84, v40
	;; [unrolled: 1-line block ×8, first 2 shown]
	v_fmamk_f32 v97, v96, 0x3f5db3d7, v48
	v_fmac_f32_e32 v48, 0xbf5db3d7, v96
	s_waitcnt lgkmcnt(7)
	v_add_f32_e32 v96, v61, v81
	v_add_f32_e32 v81, v81, v83
	v_fmac_f32_e32 v61, -0.5, v81
	v_sub_f32_e32 v67, v67, v80
	v_add_f32_e32 v81, v126, v82
	v_add_f32_e32 v1, v1, v80
	v_fmamk_f32 v80, v67, 0xbf5db3d7, v61
	v_fmac_f32_e32 v61, 0x3f5db3d7, v67
	v_add_f32_e32 v67, v52, v126
	v_fmac_f32_e32 v52, -0.5, v81
	v_sub_f32_e32 v81, v50, v87
	v_add_f32_e32 v96, v96, v83
	v_fmamk_f32 v83, v81, 0x3f5db3d7, v52
	v_fmac_f32_e32 v52, 0xbf5db3d7, v81
	s_waitcnt lgkmcnt(6)
	v_add_f32_e32 v81, v84, v50
	v_add_f32_e32 v50, v50, v87
	v_add_f32_e32 v81, v81, v87
	v_fmac_f32_e32 v84, -0.5, v50
	v_sub_f32_e32 v50, v126, v82
	v_add_f32_e32 v87, v58, v59
	v_add_f32_e32 v67, v67, v82
	v_fmamk_f32 v82, v50, 0xbf5db3d7, v84
	v_fmac_f32_e32 v84, 0x3f5db3d7, v50
	v_add_f32_e32 v50, v54, v58
	v_fmac_f32_e32 v54, -0.5, v87
	v_sub_f32_e32 v87, v51, v16
	v_fmamk_f32 v98, v87, 0x3f5db3d7, v54
	v_fmac_f32_e32 v54, 0xbf5db3d7, v87
	s_waitcnt lgkmcnt(5)
	v_add_f32_e32 v87, v85, v51
	v_add_f32_e32 v87, v87, v16
	;; [unrolled: 1-line block ×3, first 2 shown]
	v_fmac_f32_e32 v85, -0.5, v16
	v_sub_f32_e32 v16, v58, v59
	v_add_f32_e32 v51, v60, v26
	v_fmamk_f32 v58, v16, 0xbf5db3d7, v85
	v_fmac_f32_e32 v85, 0x3f5db3d7, v16
	v_add_f32_e32 v16, v56, v60
	v_fmac_f32_e32 v56, -0.5, v51
	v_sub_f32_e32 v51, v14, v17
	v_add_f32_e32 v50, v50, v59
	v_fmamk_f32 v59, v51, 0x3f5db3d7, v56
	v_fmac_f32_e32 v56, 0xbf5db3d7, v51
	s_waitcnt lgkmcnt(4)
	v_add_f32_e32 v51, v86, v14
	v_add_f32_e32 v14, v14, v17
	;; [unrolled: 1-line block ×3, first 2 shown]
	v_fmac_f32_e32 v86, -0.5, v14
	v_sub_f32_e32 v14, v60, v26
	v_add_f32_e32 v26, v92, v27
	v_add_f32_e32 v99, v51, v17
	v_fmamk_f32 v17, v14, 0xbf5db3d7, v86
	v_fmac_f32_e32 v86, 0x3f5db3d7, v14
	v_add_f32_e32 v14, v64, v92
	v_fmac_f32_e32 v64, -0.5, v26
	v_sub_f32_e32 v26, v15, v12
	v_fmamk_f32 v51, v26, 0x3f5db3d7, v64
	v_fmac_f32_e32 v64, 0xbf5db3d7, v26
	s_waitcnt lgkmcnt(3)
	v_add_f32_e32 v26, v88, v15
	v_add_f32_e32 v60, v26, v12
	;; [unrolled: 1-line block ×3, first 2 shown]
	v_fmac_f32_e32 v88, -0.5, v12
	v_sub_f32_e32 v12, v92, v27
	v_add_f32_e32 v15, v62, v46
	v_add_f32_e32 v14, v14, v27
	v_fmamk_f32 v27, v12, 0xbf5db3d7, v88
	v_fmac_f32_e32 v88, 0x3f5db3d7, v12
	v_add_f32_e32 v12, v68, v62
	v_fmac_f32_e32 v68, -0.5, v15
	v_sub_f32_e32 v15, v10, v13
	v_fmamk_f32 v26, v15, 0x3f5db3d7, v68
	v_fmac_f32_e32 v68, 0xbf5db3d7, v15
	s_waitcnt lgkmcnt(2)
	v_add_f32_e32 v15, v89, v10
	v_add_f32_e32 v10, v10, v13
	;; [unrolled: 1-line block ×3, first 2 shown]
	v_fmac_f32_e32 v89, -0.5, v10
	v_sub_f32_e32 v10, v62, v46
	v_add_f32_e32 v15, v63, v47
	v_fmamk_f32 v13, v10, 0xbf5db3d7, v89
	v_fmac_f32_e32 v89, 0x3f5db3d7, v10
	v_add_f32_e32 v10, v72, v63
	v_fmac_f32_e32 v72, -0.5, v15
	v_sub_f32_e32 v15, v11, v6
	v_add_f32_e32 v12, v12, v46
	v_fmamk_f32 v46, v15, 0x3f5db3d7, v72
	v_fmac_f32_e32 v72, 0xbf5db3d7, v15
	s_waitcnt lgkmcnt(1)
	v_add_f32_e32 v15, v90, v11
	v_add_f32_e32 v62, v15, v6
	;; [unrolled: 1-line block ×3, first 2 shown]
	v_fmac_f32_e32 v90, -0.5, v6
	v_sub_f32_e32 v6, v63, v47
	v_add_f32_e32 v11, v70, v66
	v_fmamk_f32 v63, v6, 0xbf5db3d7, v90
	v_fmac_f32_e32 v90, 0x3f5db3d7, v6
	v_add_f32_e32 v6, v74, v70
	v_fmac_f32_e32 v74, -0.5, v11
	v_sub_f32_e32 v11, v0, v7
	v_fmamk_f32 v15, v11, 0x3f5db3d7, v74
	v_fmac_f32_e32 v74, 0xbf5db3d7, v11
	s_waitcnt lgkmcnt(0)
	v_add_f32_e32 v11, v91, v0
	v_add_f32_e32 v0, v0, v7
	v_fmac_f32_e32 v91, -0.5, v0
	v_sub_f32_e32 v0, v70, v66
	v_add_f32_e32 v100, v11, v7
	v_fmamk_f32 v101, v0, 0xbf5db3d7, v91
	v_fmac_f32_e32 v91, 0x3f5db3d7, v0
	v_mul_u32_u24_e32 v0, 0x144, v29
	v_lshlrev_b32_sdwa v7, v21, v31 dst_sel:DWORD dst_unused:UNUSED_PAD src0_sel:DWORD src1_sel:BYTE_0
	v_add3_u32 v29, 0, v0, v7
	v_mul_u32_u24_e32 v0, 0x144, v33
	v_lshlrev_b32_sdwa v7, v21, v35 dst_sel:DWORD dst_unused:UNUSED_PAD src0_sel:DWORD src1_sel:BYTE_0
	v_add_f32_e32 v71, v71, v125
	v_add3_u32 v31, 0, v0, v7
	s_waitcnt lgkmcnt(0)
	; wave barrier
	ds_write2_b32 v29, v71, v94 offset1:27
	ds_write_b32 v29, v44 offset:216
	ds_write2_b32 v31, v1, v97 offset1:27
	ds_write_b32 v31, v48 offset:216
	v_mul_u32_u24_e32 v0, 0x144, v37
	v_lshlrev_b32_sdwa v1, v21, v39 dst_sel:DWORD dst_unused:UNUSED_PAD src0_sel:DWORD src1_sel:BYTE_0
	v_add3_u32 v33, 0, v0, v1
	v_mul_u32_u24_e32 v0, 0x144, v23
	v_lshlrev_b32_sdwa v1, v21, v41 dst_sel:DWORD dst_unused:UNUSED_PAD src0_sel:DWORD src1_sel:BYTE_0
	v_add3_u32 v23, 0, v0, v1
	v_perm_b32 v0, v78, v42, s2
	v_pk_mul_lo_u16 v0, v0, s0 op_sel_hi:[1,0]
	v_lshlrev_b32_e32 v7, 2, v75
	v_and_b32_e32 v1, 0xfffc, v0
	v_add3_u32 v35, 0, v1, v7
	v_lshrrev_b32_e32 v0, 16, v0
	v_lshlrev_b32_e32 v1, 2, v116
	ds_write2_b32 v33, v67, v83 offset1:27
	ds_write_b32 v33, v52 offset:216
	ds_write2_b32 v23, v50, v98 offset1:27
	ds_write_b32 v23, v54 offset:216
	;; [unrolled: 2-line block ×3, first 2 shown]
	v_add3_u32 v16, 0, v0, v1
	v_perm_b32 v0, v119, v117, s2
	v_pk_mul_lo_u16 v0, v0, s0 op_sel_hi:[1,0]
	v_lshlrev_b32_e32 v7, 2, v118
	v_and_b32_e32 v1, 0xfffc, v0
	v_add3_u32 v37, 0, v1, v7
	v_lshrrev_b32_e32 v0, 16, v0
	v_lshlrev_b32_e32 v1, 2, v120
	v_add3_u32 v39, 0, v0, v1
	v_mul_u32_u24_e32 v0, 0x144, v121
	v_lshlrev_b32_e32 v1, 2, v122
	v_add_f32_e32 v10, v10, v47
	v_add_f32_e32 v6, v6, v66
	v_add3_u32 v41, 0, v0, v1
	ds_write2_b32 v16, v14, v51 offset1:27
	ds_write_b32 v16, v64 offset:216
	ds_write2_b32 v37, v12, v26 offset1:27
	ds_write_b32 v37, v68 offset:216
	;; [unrolled: 2-line block ×4, first 2 shown]
	s_waitcnt lgkmcnt(0)
	; wave barrier
	s_waitcnt lgkmcnt(0)
	ds_read_b32 v48, v18
	ds_read2_b32 v[46:47], v55 offset0:55 offset1:118
	ds_read2_b32 v[0:1], v53 offset0:47 offset1:110
	;; [unrolled: 1-line block ×9, first 2 shown]
	ds_read_b32 v52, v38
	ds_read_b32 v54, v40
	;; [unrolled: 1-line block ×8, first 2 shown]
	s_waitcnt lgkmcnt(0)
	; wave barrier
	s_waitcnt lgkmcnt(0)
	ds_write2_b32 v29, v93, v95 offset1:27
	ds_write_b32 v29, v76 offset:216
	ds_write2_b32 v31, v96, v80 offset1:27
	ds_write_b32 v31, v61 offset:216
	;; [unrolled: 2-line block ×9, first 2 shown]
	v_subrev_u32_e32 v13, 18, v108
	v_cmp_gt_u32_e64 s[0:1], 18, v108
	s_waitcnt lgkmcnt(0)
	; wave barrier
	s_waitcnt lgkmcnt(0)
	v_cndmask_b32_e64 v27, v13, v110, s[0:1]
	s_movk_i32 s0, 0xcb
	v_mul_lo_u16_sdwa v13, v111, s0 dst_sel:DWORD dst_unused:UNUSED_PAD src0_sel:BYTE_0 src1_sel:DWORD
	v_lshrrev_b16_e32 v39, 14, v13
	v_mul_lo_u16_e32 v13, 0x51, v39
	v_sub_u16_e32 v99, v111, v13
	v_lshlrev_b32_sdwa v13, v19, v99 dst_sel:DWORD dst_unused:UNUSED_PAD src0_sel:DWORD src1_sel:BYTE_0
	global_load_dwordx4 v[88:91], v13, s[4:5] offset:624
	v_mul_lo_u16_sdwa v13, v109, s0 dst_sel:DWORD dst_unused:UNUSED_PAD src0_sel:BYTE_0 src1_sel:DWORD
	v_lshrrev_b16_e32 v137, 14, v13
	v_mul_lo_u16_e32 v13, 0x51, v137
	v_sub_u16_e32 v138, v109, v13
	v_lshlrev_b32_sdwa v13, v19, v138 dst_sel:DWORD dst_unused:UNUSED_PAD src0_sel:DWORD src1_sel:BYTE_0
	s_movk_i32 s0, 0x6523
	global_load_dwordx4 v[94:97], v13, s[4:5] offset:624
	v_mul_u32_u24_sdwa v13, v2, s0 dst_sel:DWORD dst_unused:UNUSED_PAD src0_sel:WORD_0 src1_sel:DWORD
	v_lshrrev_b32_e32 v13, 21, v13
	v_mul_lo_u16_e32 v13, 0x51, v13
	v_sub_u16_e32 v139, v2, v13
	v_lshlrev_b32_e32 v2, 4, v139
	global_load_dwordx4 v[100:103], v2, s[4:5] offset:624
	v_mul_u32_u24_sdwa v2, v3, s0 dst_sel:DWORD dst_unused:UNUSED_PAD src0_sel:WORD_0 src1_sel:DWORD
	v_lshlrev_b32_e32 v16, 1, v108
	v_mov_b32_e32 v17, 0
	v_lshrrev_b32_e32 v140, 21, v2
	v_lshl_add_u64 v[58:59], v[16:17], 3, s[4:5]
	v_mul_lo_u16_e32 v2, 0x51, v140
	global_load_dwordx4 v[58:61], v[58:59], off offset:624
	v_sub_u16_e32 v141, v3, v2
	v_lshlrev_b32_e32 v2, 4, v141
	global_load_dwordx4 v[104:107], v2, s[4:5] offset:624
	v_mul_u32_u24_sdwa v2, v4, s0 dst_sel:DWORD dst_unused:UNUSED_PAD src0_sel:WORD_0 src1_sel:DWORD
	v_lshlrev_b32_e32 v16, 1, v27
	v_lshrrev_b32_e32 v142, 21, v2
	v_lshl_add_u64 v[16:17], v[16:17], 3, s[4:5]
	global_load_dwordx4 v[84:87], v[16:17], off offset:624
	v_mul_lo_u16_e32 v2, 0x51, v142
	v_sub_u16_e32 v143, v4, v2
	v_lshlrev_b32_e32 v2, 4, v143
	global_load_dwordx4 v[112:115], v2, s[4:5] offset:624
	v_mul_u32_u24_sdwa v2, v5, s0 dst_sel:DWORD dst_unused:UNUSED_PAD src0_sel:WORD_0 src1_sel:DWORD
	v_mul_u32_u24_sdwa v4, v43, s0 dst_sel:DWORD dst_unused:UNUSED_PAD src0_sel:WORD_0 src1_sel:DWORD
	v_lshrrev_b32_e32 v144, 21, v2
	v_lshrrev_b32_e32 v4, 21, v4
	v_mul_lo_u16_e32 v2, 0x51, v144
	v_mul_lo_u16_e32 v4, 0x51, v4
	v_sub_u16_e32 v145, v5, v2
	v_sub_u16_e32 v146, v43, v4
	v_lshlrev_b32_e32 v2, 4, v145
	v_lshlrev_b32_e32 v4, 4, v146
	ds_read_b32 v16, v18
	global_load_dwordx4 v[116:119], v2, s[4:5] offset:624
	ds_read2_b32 v[2:3], v55 offset0:55 offset1:118
	ds_read2_b32 v[124:125], v53 offset0:47 offset1:110
	global_load_dwordx4 v[120:123], v4, s[4:5] offset:624
	ds_read2_b32 v[42:43], v53 offset0:173 offset1:236
	ds_read2_b32 v[80:81], v55 offset0:181 offset1:244
	;; [unrolled: 1-line block ×6, first 2 shown]
	v_mov_b32_e32 v31, 0x3f5db3d7
	v_cmp_lt_u32_e64 s[0:1], 17, v108
	s_waitcnt vmcnt(8)
	v_mul_f32_e32 v98, v51, v91
	v_mul_f32_e32 v92, v66, v89
	s_waitcnt lgkmcnt(5)
	v_fmac_f32_e32 v98, v43, v90
	s_waitcnt lgkmcnt(4)
	v_fmac_f32_e32 v92, v80, v88
	s_waitcnt vmcnt(5)
	v_mul_f32_e32 v63, v46, v59
	v_mul_f32_e32 v4, v2, v59
	v_fmac_f32_e32 v63, v2, v58
	v_mul_f32_e32 v2, v125, v61
	v_fma_f32 v68, v1, v60, -v2
	v_mul_f32_e32 v2, v80, v89
	v_fma_f32 v4, v46, v58, -v4
	ds_read2_b32 v[58:59], v79 offset0:39 offset1:102
	v_fma_f32 v79, v66, v88, -v2
	v_mul_f32_e32 v2, v43, v91
	v_fma_f32 v93, v51, v90, -v2
	v_mul_f32_e32 v2, v81, v95
	v_mul_f32_e32 v82, v1, v61
	s_waitcnt vmcnt(3)
	v_mul_f32_e32 v1, v3, v85
	v_fma_f32 v78, v67, v94, -v2
	s_waitcnt lgkmcnt(4)
	v_mul_f32_e32 v2, v126, v97
	v_fma_f32 v41, v47, v84, -v1
	v_mul_f32_e32 v1, v42, v87
	v_fma_f32 v91, v70, v96, -v2
	s_waitcnt lgkmcnt(3)
	v_mul_f32_e32 v2, v128, v101
	v_fma_f32 v76, v50, v86, -v1
	ds_read_b32 v56, v38
	ds_read_b32 v46, v40
	;; [unrolled: 1-line block ×8, first 2 shown]
	v_fma_f32 v77, v74, v100, -v2
	v_mul_f32_e32 v2, v127, v103
	v_fma_f32 v89, v71, v102, -v2
	v_mul_f32_e32 v2, v129, v105
	v_fma_f32 v73, v75, v104, -v2
	s_waitcnt lgkmcnt(10)
	v_mul_f32_e32 v2, v130, v107
	v_mul_f32_e32 v72, v47, v85
	v_fma_f32 v85, v10, v106, -v2
	s_waitcnt vmcnt(2) lgkmcnt(9)
	v_mul_f32_e32 v2, v132, v113
	v_mul_f32_e32 v90, v67, v95
	v_fma_f32 v44, v6, v112, -v2
	v_mul_f32_e32 v2, v131, v115
	v_fmac_f32_e32 v82, v125, v60
	v_fmac_f32_e32 v90, v81, v94
	v_mul_f32_e32 v95, v10, v107
	v_fma_f32 v81, v11, v114, -v2
	v_mul_f32_e32 v94, v11, v115
	s_waitcnt vmcnt(1)
	v_mul_f32_e32 v10, v7, v116
	v_mul_f32_e32 v11, v7, v117
	s_waitcnt vmcnt(0)
	v_mul_f32_e32 v5, v124, v121
	v_add_f32_e32 v7, v4, v68
	v_fma_f32 v47, v0, v120, -v5
	v_mul_f32_e32 v62, v0, v121
	v_add_f32_e32 v0, v48, v4
	v_fmac_f32_e32 v48, -0.5, v7
	v_sub_f32_e32 v7, v63, v82
	v_mul_f32_e32 v83, v50, v87
	v_fmamk_f32 v50, v7, 0x3f5db3d7, v48
	v_fmac_f32_e32 v48, 0xbf5db3d7, v7
	v_add_f32_e32 v7, v52, v41
	v_fmac_f32_e32 v72, v3, v84
	v_fmac_f32_e32 v83, v42, v86
	v_add_f32_e32 v51, v7, v76
	v_add_f32_e32 v7, v41, v76
	v_fmac_f32_e32 v52, -0.5, v7
	v_sub_f32_e32 v7, v72, v83
	v_fmamk_f32 v60, v7, 0x3f5db3d7, v52
	v_fmac_f32_e32 v52, 0xbf5db3d7, v7
	v_add_f32_e32 v7, v54, v79
	v_add_f32_e32 v61, v7, v93
	;; [unrolled: 1-line block ×3, first 2 shown]
	v_fmac_f32_e32 v54, -0.5, v7
	v_sub_f32_e32 v7, v92, v98
	v_mul_f32_e32 v97, v70, v97
	v_fmamk_f32 v66, v7, 0x3f5db3d7, v54
	v_fmac_f32_e32 v54, 0xbf5db3d7, v7
	v_add_f32_e32 v7, v64, v78
	v_fmac_f32_e32 v97, v126, v96
	v_add_f32_e32 v67, v7, v91
	v_add_f32_e32 v7, v78, v91
	v_fmac_f32_e32 v64, -0.5, v7
	v_sub_f32_e32 v7, v90, v97
	v_mul_f32_e32 v88, v74, v101
	v_mul_f32_e32 v96, v71, v103
	v_fmamk_f32 v70, v7, 0x3f5db3d7, v64
	v_fmac_f32_e32 v64, 0xbf5db3d7, v7
	v_add_f32_e32 v7, v134, v77
	v_fmac_f32_e32 v88, v128, v100
	v_fmac_f32_e32 v96, v127, v102
	s_waitcnt lgkmcnt(8)
	v_mul_f32_e32 v3, v58, v119
	v_add_f32_e32 v71, v7, v89
	v_add_f32_e32 v7, v77, v89
	v_mul_f32_e32 v80, v6, v113
	v_fma_f32 v6, v14, v118, -v3
	v_mul_f32_e32 v3, v14, v119
	v_fmac_f32_e32 v134, -0.5, v7
	v_sub_f32_e32 v7, v88, v96
	v_mul_f32_e32 v84, v75, v105
	v_mul_f32_e32 v2, v133, v117
	v_fmac_f32_e32 v11, v133, v116
	v_fmac_f32_e32 v3, v58, v118
	v_fmamk_f32 v74, v7, 0x3f5db3d7, v134
	v_fmac_f32_e32 v134, 0xbf5db3d7, v7
	v_add_f32_e32 v7, v135, v73
	v_fmac_f32_e32 v84, v129, v104
	v_fmac_f32_e32 v95, v130, v106
	v_mul_f32_e32 v13, v15, v122
	v_mul_f32_e32 v5, v15, v123
	v_add_f32_e32 v75, v7, v85
	v_add_f32_e32 v7, v73, v85
	v_pk_add_f32 v[14:15], v[10:11], v[2:3] neg_lo:[0,1] neg_hi:[0,1]
	v_fmac_f32_e32 v5, v59, v122
	v_fmac_f32_e32 v135, -0.5, v7
	v_sub_f32_e32 v7, v84, v95
	v_add_f32_e32 v58, v14, v6
	v_mov_b32_e32 v122, 0.5
	v_fmamk_f32 v86, v7, 0x3f5db3d7, v135
	v_fmac_f32_e32 v135, 0xbf5db3d7, v7
	v_add_f32_e32 v7, v136, v44
	v_mov_b32_e32 v30, v12
	v_pk_fma_f32 v[12:13], v[58:59], v[122:123], v[12:13] neg_lo:[1,0,0] neg_hi:[1,0,0]
	v_fmac_f32_e32 v80, v132, v112
	v_fmac_f32_e32 v94, v131, v114
	;; [unrolled: 1-line block ×3, first 2 shown]
	v_add_f32_e32 v0, v0, v68
	v_add_f32_e32 v87, v7, v81
	;; [unrolled: 1-line block ×4, first 2 shown]
	v_fmac_f32_e32 v136, -0.5, v7
	v_sub_f32_e32 v7, v80, v94
	v_add_f32_e32 v37, v26, v47
	v_pk_add_f32 v[34:35], v[30:31], v[14:15]
	v_pk_mul_f32 v[42:43], v[30:31], v[14:15]
	v_fmac_f32_e32 v26, -0.5, v2
	v_sub_f32_e32 v2, v62, v5
	s_waitcnt lgkmcnt(0)
	; wave barrier
	s_waitcnt lgkmcnt(0)
	ds_write2_b32 v18, v0, v50 offset1:81
	ds_write_b32 v18, v48 offset:648
	v_mov_b32_e32 v0, 0x3cc
	v_fmamk_f32 v100, v7, 0x3f5db3d7, v136
	v_fmac_f32_e32 v136, 0xbf5db3d7, v7
	v_mov_b32_e32 v35, v43
	v_mov_b32_e32 v7, v12
	v_fmamk_f32 v33, v2, 0x3f5db3d7, v26
	v_fmac_f32_e32 v26, 0xbf5db3d7, v2
	v_cndmask_b32_e64 v0, 0, v0, s[0:1]
	v_lshlrev_b32_e32 v2, 2, v27
	v_pk_add_f32 v[30:31], v[6:7], v[34:35]
	v_pk_add_f32 v[34:35], v[6:7], v[34:35] neg_lo:[0,1] neg_hi:[0,1]
	v_mov_b32_e32 v36, v43
	v_add3_u32 v2, 0, v0, v2
	v_mul_u32_u24_e32 v0, 0x3cc, v39
	v_lshlrev_b32_sdwa v7, v21, v99 dst_sel:DWORD dst_unused:UNUSED_PAD src0_sel:DWORD src1_sel:BYTE_0
	v_pk_add_f32 v[36:37], v[36:37], v[12:13]
	v_add3_u32 v7, 0, v0, v7
	v_mul_u32_u24_e32 v0, 0x3cc, v137
	v_lshlrev_b32_sdwa v10, v21, v138 dst_sel:DWORD dst_unused:UNUSED_PAD src0_sel:DWORD src1_sel:BYTE_0
	v_lshl_add_u32 v12, v139, 2, 0
	v_add3_u32 v10, 0, v0, v10
	v_add_u32_e32 v0, 0xa00, v12
	ds_write2_b32 v2, v51, v60 offset1:81
	ds_write_b32 v2, v52 offset:648
	ds_write2_b32 v7, v61, v66 offset1:81
	ds_write_b32 v7, v54 offset:648
	;; [unrolled: 2-line block ×3, first 2 shown]
	ds_write2_b32 v0, v71, v74 offset0:89 offset1:170
	ds_write_b32 v12, v134 offset:3564
	v_mul_u32_u24_e32 v0, 0x3cc, v140
	v_lshlrev_b32_e32 v15, 2, v141
	v_add3_u32 v15, 0, v0, v15
	v_perm_b32 v0, v144, v142, s2
	v_pk_mul_lo_u16 v0, v0, s3 op_sel_hi:[1,0]
	v_lshlrev_b32_e32 v27, 2, v143
	v_and_b32_e32 v21, 0xfffc, v0
	v_add3_u32 v21, 0, v21, v27
	v_lshrrev_b32_e32 v0, 16, v0
	v_lshlrev_b32_e32 v27, 2, v145
	v_lshl_add_u32 v34, v146, 2, 0
	v_add3_u32 v31, 0, v0, v27
	v_add_u32_e32 v0, 0x1600, v34
	ds_write2_b32 v15, v75, v86 offset1:81
	ds_write_b32 v15, v135 offset:648
	ds_write2_b32 v21, v87, v100 offset1:81
	ds_write_b32 v21, v136 offset:648
	;; [unrolled: 2-line block ×3, first 2 shown]
	ds_write2_b32 v0, v37, v33 offset0:50 offset1:131
	ds_write_b32 v34, v26 offset:6480
	v_add_u32_e32 v0, 0x600, v18
	s_waitcnt lgkmcnt(0)
	; wave barrier
	s_waitcnt lgkmcnt(0)
	ds_read2_b32 v[86:87], v18 offset1:243
	ds_read2_b32 v[74:75], v0 offset0:102 offset1:165
	ds_read2_b32 v[54:55], v55 offset0:100 offset1:217
	v_add_u32_e32 v0, 0xe00, v18
	ds_read2_b32 v[66:67], v0 offset0:76 offset1:139
	ds_read2_b32 v[50:51], v53 offset0:74 offset1:191
	;; [unrolled: 1-line block ×3, first 2 shown]
	v_add_u32_e32 v0, 0x400, v18
	ds_read2_b32 v[52:53], v0 offset0:50 offset1:113
	ds_read2_b32 v[58:59], v57 offset0:24 offset1:87
	v_add_u32_e32 v0, 0x1200, v18
	ds_read2_b32 v[60:61], v0 offset0:126 offset1:189
	ds_read_b32 v64, v38
	ds_read_b32 v48, v40
	ds_read_b32 v57, v18 offset:6336
	v_sub_u32_e32 v0, 0, v45
	v_cmp_gt_u32_e64 s[0:1], 54, v108
	v_cmp_lt_u32_e64 s[2:3], 53, v108
                                        ; implicit-def: $vgpr38_vgpr39
	s_and_saveexec_b64 s[8:9], s[2:3]
	s_xor_b64 s[8:9], exec, s[8:9]
                                        ; implicit-def: $vgpr42_vgpr43
; %bb.14:
	v_mov_b32_e32 v43, v35
	v_mov_b64_e32 v[38:39], v[36:37]
; %bb.15:
	s_or_saveexec_b64 s[8:9], s[8:9]
	v_sub_u32_e32 v42, 0, v20
	v_sub_u32_e32 v22, 0, v22
	v_add_u32_e32 v20, v32, v0
	s_xor_b64 exec, exec, s[8:9]
	s_cbranch_execz .LBB0_17
; %bb.16:
	v_add_u32_e32 v0, 0x6c0, v18
	ds_read2_b32 v[36:37], v0 offset1:243
	v_add_u32_e32 v0, 0xe40, v18
	ds_read2_b32 v[32:33], v0 offset0:6 offset1:249
	ds_read_b32 v30, v20
	v_add_u32_e32 v0, 0x15c0, v18
	ds_read2_b32 v[26:27], v0 offset0:12 offset1:255
	s_waitcnt lgkmcnt(3)
	v_mov_b32_e32 v38, v36
	s_waitcnt lgkmcnt(2)
	v_mov_b32_e32 v39, v32
	v_mov_b32_e32 v43, v37
	;; [unrolled: 1-line block ×3, first 2 shown]
.LBB0_17:
	s_or_b64 exec, exec, s[8:9]
	v_add_f32_e32 v0, v16, v63
	v_add_f32_e32 v32, v0, v82
	v_add_f32_e32 v0, v63, v82
	v_fmac_f32_e32 v16, -0.5, v0
	v_sub_f32_e32 v0, v4, v68
	v_fmamk_f32 v37, v0, 0xbf5db3d7, v16
	v_fmac_f32_e32 v16, 0x3f5db3d7, v0
	v_add_f32_e32 v0, v56, v72
	v_add_f32_e32 v63, v0, v83
	v_add_f32_e32 v0, v72, v83
	v_fmac_f32_e32 v56, -0.5, v0
	v_sub_f32_e32 v0, v41, v76
	v_fmamk_f32 v72, v0, 0xbf5db3d7, v56
	v_fmac_f32_e32 v56, 0x3f5db3d7, v0
	;; [unrolled: 7-line block ×6, first 2 shown]
	v_add_f32_e32 v0, v17, v80
	v_add_f32_e32 v84, v0, v94
	;; [unrolled: 1-line block ×3, first 2 shown]
	v_fmac_f32_e32 v17, -0.5, v0
	v_sub_f32_e32 v0, v44, v81
	v_add_f32_e32 v4, v11, v3
	v_fmamk_f32 v80, v0, 0xbf5db3d7, v17
	v_fmac_f32_e32 v17, 0x3f5db3d7, v0
	v_add_f32_e32 v0, v1, v11
	v_fmac_f32_e32 v1, -0.5, v4
	v_sub_f32_e32 v4, v14, v6
	v_mul_f32_e32 v45, 0x3f5db3d7, v4
	v_mov_b32_e32 v44, v3
	v_add_f32_e32 v69, v28, v62
	v_mov_b32_e32 v4, v1
	v_mov_b32_e32 v68, v45
	v_pk_add_f32 v[40:41], v[0:1], v[44:45]
	v_pk_add_f32 v[0:1], v[4:5], v[68:69]
	v_pk_add_f32 v[44:45], v[4:5], v[68:69] neg_lo:[0,1] neg_hi:[0,1]
	v_add_f32_e32 v0, v62, v5
	v_fmac_f32_e32 v28, -0.5, v0
	v_sub_f32_e32 v0, v47, v13
	v_fmamk_f32 v47, v0, 0xbf5db3d7, v28
	v_fmac_f32_e32 v28, 0x3f5db3d7, v0
	v_add_u32_e32 v0, 0xa00, v12
	s_waitcnt lgkmcnt(0)
	; wave barrier
	s_waitcnt lgkmcnt(0)
	ds_write2_b32 v18, v32, v37 offset1:81
	ds_write_b32 v18, v16 offset:648
	ds_write2_b32 v2, v63, v72 offset1:81
	ds_write_b32 v2, v56 offset:648
	;; [unrolled: 2-line block ×4, first 2 shown]
	ds_write2_b32 v0, v83, v77 offset0:89 offset1:170
	ds_write_b32 v12, v23 offset:3564
	ds_write2_b32 v15, v88, v73 offset1:81
	ds_write_b32 v15, v19 offset:648
	ds_write2_b32 v21, v84, v80 offset1:81
	;; [unrolled: 2-line block ×3, first 2 shown]
	ds_write_b32 v31, v41 offset:648
	v_add_u32_e32 v0, 0x1600, v34
	ds_write2_b32 v0, v1, v47 offset0:50 offset1:131
	ds_write_b32 v34, v28 offset:6480
	v_add_u32_e32 v0, 0x600, v18
	s_waitcnt lgkmcnt(0)
	; wave barrier
	s_waitcnt lgkmcnt(0)
	ds_read2_b32 v[92:93], v0 offset0:102 offset1:165
	v_add_u32_e32 v0, 0x800, v18
	ds_read2_b32 v[78:79], v0 offset0:100 offset1:217
	v_add_u32_e32 v0, 0xe00, v18
	;; [unrolled: 2-line block ×3, first 2 shown]
	v_add_u32_e32 v2, 0x400, v18
	ds_read2_b32 v[72:73], v0 offset0:74 offset1:191
	v_add_u32_e32 v0, 0x1400, v18
	ds_read2_b32 v[76:77], v2 offset0:50 offset1:113
	;; [unrolled: 2-line block ×4, first 2 shown]
	v_add_u32_e32 v2, 0x1200, v18
	ds_read2_b32 v[100:101], v18 offset1:243
	ds_read2_b32 v[84:85], v2 offset0:126 offset1:189
	v_add_u32_e32 v2, v65, v22
	ds_read_b32 v65, v0
	ds_read_b32 v49, v2
	ds_read_b32 v83, v18 offset:6336
                                        ; implicit-def: $vgpr62_vgpr63
	s_and_saveexec_b64 s[8:9], s[2:3]
	s_xor_b64 s[2:3], exec, s[8:9]
	s_cbranch_execnz .LBB0_21
; %bb.18:
	s_andn2_saveexec_b64 s[2:3], s[2:3]
	s_cbranch_execnz .LBB0_22
.LBB0_19:
	s_or_b64 exec, exec, s[2:3]
	s_and_saveexec_b64 s[2:3], vcc
	s_cbranch_execnz .LBB0_23
.LBB0_20:
	s_endpgm
.LBB0_21:
	v_mov_b32_e32 v45, v1
	v_mov_b64_e32 v[62:63], v[44:45]
                                        ; implicit-def: $vgpr20
                                        ; implicit-def: $vgpr18
	s_andn2_saveexec_b64 s[2:3], s[2:3]
	s_cbranch_execz .LBB0_19
.LBB0_22:
	v_add_u32_e32 v0, 0x6c0, v18
	ds_read2_b32 v[44:45], v0 offset1:243
	v_add_u32_e32 v0, 0xe40, v18
	ds_read2_b32 v[46:47], v0 offset0:6 offset1:249
	v_add_u32_e32 v0, 0x15c0, v18
	ds_read_b32 v40, v20
	ds_read2_b32 v[28:29], v0 offset0:12 offset1:255
	s_waitcnt lgkmcnt(3)
	v_mov_b32_e32 v62, v44
	s_waitcnt lgkmcnt(2)
	v_mov_b32_e32 v63, v46
	v_mov_b32_e32 v41, v45
	s_or_b64 exec, exec, s[2:3]
	s_and_saveexec_b64 s[2:3], vcc
	s_cbranch_execz .LBB0_20
.LBB0_23:
	v_mul_i32_i24_e32 v68, 6, v111
	v_mov_b32_e32 v69, 0
	v_mul_u32_u24_e32 v12, 6, v108
	v_lshl_add_u64 v[10:11], v[68:69], 3, s[4:5]
	v_lshlrev_b32_e32 v12, 3, v12
	global_load_dwordx4 v[0:3], v[10:11], off offset:1920
	global_load_dwordx4 v[4:7], v[10:11], off offset:1952
	global_load_dwordx4 v[112:115], v12, s[4:5] offset:1920
	global_load_dwordx4 v[116:119], v12, s[4:5] offset:1952
	global_load_dwordx4 v[120:123], v12, s[4:5] offset:1936
	v_mul_lo_u32 v14, s7, v8
	v_mul_lo_u32 v9, s6, v9
	v_mad_u64_u32 v[12:13], s[2:3], s6, v8, 0
	s_mov_b32 s15, 0x86d90545
	v_mul_i32_i24_e32 v68, 6, v110
	v_add3_u32 v13, v13, v9, v14
	v_mul_hi_u32 v14, v108, s15
	v_lshl_add_u64 v[94:95], v[68:69], 3, s[4:5]
	global_load_dwordx4 v[8:11], v[10:11], off offset:1936
	v_lshrrev_b32_e32 v31, 7, v14
	v_lshl_add_u64 v[96:97], v[12:13], 3, s[10:11]
	global_load_dwordx4 v[12:15], v[94:95], off offset:1920
	global_load_dwordx4 v[16:19], v[94:95], off offset:1936
	;; [unrolled: 1-line block ×3, first 2 shown]
	s_movk_i32 s9, 0xf3
	v_mul_lo_u32 v31, v31, s9
	v_sub_u32_e32 v37, v108, v31
	v_add_u32_e32 v82, 0x3cc, v37
	v_mad_u64_u32 v[102:103], s[2:3], s16, v82, 0
	s_waitcnt lgkmcnt(8)
	v_mov_b32_e32 v124, v73
	v_mov_b32_e32 v56, v103
	;; [unrolled: 1-line block ×5, first 2 shown]
	v_add_u32_e32 v45, 0x1e6, v37
	v_mad_u64_u32 v[130:131], s[2:3], s17, v82, v[56:57]
	v_mov_b32_e32 v32, v51
	v_mad_u64_u32 v[128:129], s[2:3], s16, v45, 0
	v_mov_b32_e32 v103, v130
	v_mov_b32_e32 v42, v129
	v_lshl_add_u64 v[24:25], v[24:25], 3, v[96:97]
	v_mad_u64_u32 v[96:97], s[2:3], s17, v45, v[42:43]
	v_mov_b32_e32 v146, v88
	s_waitcnt lgkmcnt(4)
	v_mov_b32_e32 v147, v101
	v_mad_u64_u32 v[110:111], s[2:3], s16, v37, 0
	v_add_u32_e32 v31, 0xf3, v37
	v_add_u32_e32 v68, 0x2d9, v37
	v_mov_b32_e32 v34, v111
	v_mad_u64_u32 v[126:127], s[2:3], s16, v31, 0
	v_mad_u64_u32 v[104:105], s[2:3], s16, v68, 0
	;; [unrolled: 1-line block ×3, first 2 shown]
	v_mov_b32_e32 v34, v127
	v_mov_b32_e32 v46, v105
	;; [unrolled: 1-line block ×3, first 2 shown]
	v_mad_u64_u32 v[94:95], s[2:3], s17, v31, v[34:35]
	v_mad_u64_u32 v[98:99], s[2:3], s17, v68, v[46:47]
	v_lshl_add_u64 v[110:111], v[110:111], 3, v[24:25]
	s_mov_b32 s2, 0x3f4a47b2
	s_mov_b32 s20, 0x3f955555
	s_mov_b32 s10, 0x3eae86e6
	s_mov_b32 s3, 0x3d64c772
	s_mov_b32 s11, 0xbf08b237
	s_mov_b32 s6, s3
	s_mov_b32 s7, s2
	s_mov_b32 s12, s11
	s_mov_b32 s13, s10
	s_mov_b32 s8, 0x3ee1c552
	v_mov_b32_e32 v127, v94
	v_lshl_add_u64 v[126:127], v[126:127], 3, v[24:25]
	v_mov_b32_e32 v129, v96
	s_mov_b32 s14, 0x3f3bfb3b
	v_mov_b32_e32 v105, v98
	v_lshl_add_u64 v[104:105], v[104:105], 3, v[24:25]
	v_lshl_add_u64 v[102:103], v[102:103], 3, v[24:25]
	v_mov_b32_e32 v82, v81
	v_mov_b32_e32 v56, v59
	s_waitcnt vmcnt(6)
	v_mul_f32_e32 v132, v74, v115
	s_waitcnt vmcnt(5)
	v_mov_b32_e32 v144, v117
	s_waitcnt vmcnt(4)
	v_mov_b32_e32 v145, v120
	v_mov_b32_e32 v134, v116
	;; [unrolled: 1-line block ×3, first 2 shown]
	v_pk_mul_f32 v[124:125], v[124:125], v[144:145]
	v_mul_f32_e32 v130, v51, v117
	v_pk_fma_f32 v[106:107], v[106:107], v[134:135], v[124:125]
	v_mov_b32_e32 v134, v92
	v_mov_b32_e32 v135, v88
	;; [unrolled: 1-line block ×4, first 2 shown]
	v_fmac_f32_e32 v130, v73, v116
	v_pk_fma_f32 v[116:117], v[32:33], v[116:117], v[124:125] neg_lo:[0,0,1] neg_hi:[0,0,1]
	v_mov_b32_e32 v124, v74
	v_mov_b32_e32 v125, v66
	v_pk_mul_f32 v[134:135], v[134:135], v[144:145]
	v_mov_b32_e32 v144, v114
	v_mov_b32_e32 v145, v123
	v_mul_f32_e32 v45, v90, v119
	v_fmac_f32_e32 v132, v92, v114
	v_pk_fma_f32 v[124:125], v[124:125], v[144:145], v[134:135]
	v_pk_fma_f32 v[114:115], v[74:75], v[114:115], v[134:135] neg_lo:[0,0,1] neg_hi:[0,0,1]
	v_mov_b32_e32 v135, v118
	v_mov_b32_e32 v144, v79
	;; [unrolled: 1-line block ×4, first 2 shown]
	v_fma_f32 v139, v70, v118, -v45
	v_pk_mul_f32 v[134:135], v[144:145], v[134:135]
	v_mov_b32_e32 v144, v55
	v_mov_b32_e32 v145, v70
	;; [unrolled: 1-line block ×4, first 2 shown]
	v_mul_f32_e32 v42, v101, v113
	v_pk_fma_f32 v[118:119], v[144:145], v[118:119], v[134:135]
	v_pk_fma_f32 v[120:121], v[32:33], v[120:121], v[134:135] neg_lo:[0,0,1] neg_hi:[0,0,1]
	v_mov_b32_e32 v134, v123
	v_mov_b32_e32 v135, v112
	v_fma_f32 v137, v87, v112, -v42
	v_mov_b32_e32 v123, v113
	v_mov_b32_e32 v112, v66
	;; [unrolled: 1-line block ×3, first 2 shown]
	v_pk_mul_f32 v[134:135], v[146:147], v[134:135]
	v_mov_b32_e32 v117, v107
	v_pk_fma_f32 v[146:147], v[112:113], v[122:123], v[134:135] neg_lo:[0,0,1] neg_hi:[0,0,1]
	v_pk_fma_f32 v[112:113], v[112:113], v[122:123], v[134:135]
	v_mov_b32_e32 v115, v125
	v_mov_b32_e32 v121, v119
	;; [unrolled: 1-line block ×3, first 2 shown]
	v_add_f32_e32 v141, v132, v130
	v_add_f32_e32 v142, v137, v139
	v_pk_add_f32 v[144:145], v[114:115], v[116:117] neg_lo:[0,1] neg_hi:[0,1]
	v_pk_add_f32 v[122:123], v[146:147], v[120:121]
	v_pk_add_f32 v[114:115], v[114:115], v[116:117]
	v_mov_b32_e32 v118, v119
	v_mov_b32_e32 v119, v120
	v_add_f32_e32 v135, v123, v141
	v_add_f32_e32 v116, v142, v114
	v_mov_b32_e32 v117, v115
	v_mov_b32_e32 v134, v122
	;; [unrolled: 1-line block ×7, first 2 shown]
	v_mul_f32_e32 v31, v77, v1
	v_pk_add_f32 v[116:117], v[116:117], v[134:135]
	v_mov_b32_e32 v87, v100
	v_pk_add_f32 v[130:131], v[132:133], v[130:131] neg_lo:[0,1] neg_hi:[0,1]
	v_pk_add_f32 v[112:113], v[32:33], v[118:119] neg_lo:[0,1] neg_hi:[0,1]
	v_pk_add_f32 v[106:107], v[136:137], v[138:139] neg_lo:[0,1] neg_hi:[0,1]
	v_fma_f32 v95, v53, v0, -v31
	v_mov_b32_e32 v143, v115
	v_mov_b32_e32 v140, v122
	;; [unrolled: 1-line block ×3, first 2 shown]
	v_pk_add_f32 v[86:87], v[86:87], v[116:117]
	v_mov_b32_e32 v124, v112
	v_mov_b32_e32 v125, v131
	;; [unrolled: 1-line block ×4, first 2 shown]
	v_pk_add_f32 v[120:121], v[142:143], v[140:141] neg_lo:[0,1] neg_hi:[0,1]
	v_pk_add_f32 v[118:119], v[130:131], v[30:31]
	v_pk_fma_f32 v[116:117], v[116:117], s[20:21], v[86:87] op_sel_hi:[1,0,1] neg_lo:[1,0,0] neg_hi:[1,0,0]
	v_pk_add_f32 v[124:125], v[124:125], v[134:135] neg_lo:[0,1] neg_hi:[0,1]
	global_store_dwordx2 v[110:111], v[86:87], off
	v_pk_add_f32 v[86:87], v[106:107], v[130:131]
	v_pk_mul_f32 v[120:121], v[120:121], s[2:3]
	v_pk_add_f32 v[132:133], v[122:123], v[114:115] neg_lo:[0,1] neg_hi:[0,1]
	v_mov_b32_e32 v113, v119
	v_pk_mul_f32 v[124:125], v[124:125], s[10:11]
	v_pk_add_f32 v[134:135], v[106:107], v[130:131] neg_lo:[0,1] neg_hi:[0,1]
	v_mov_b32_e32 v87, v107
	v_pk_fma_f32 v[118:119], v[132:133], s[6:7], v[120:121]
	v_pk_fma_f32 v[136:137], v[134:135], s[12:13], v[124:125]
	v_pk_add_f32 v[110:111], v[86:87], v[112:113]
	v_pk_add_f32 v[118:119], v[118:119], v[116:117]
	v_pk_fma_f32 v[86:87], v[110:111], s[8:9], v[136:137] op_sel_hi:[1,0,1]
	s_waitcnt lgkmcnt(0)
	v_mul_f32_e32 v34, v83, v7
	v_pk_add_f32 v[136:137], v[118:119], v[86:87] neg_lo:[0,1] neg_hi:[0,1]
	v_pk_add_f32 v[86:87], v[118:119], v[86:87]
	v_fma_f32 v97, v57, v6, -v34
	v_add_u32_e32 v34, 0x4bf, v37
	v_mov_b32_e32 v118, v86
	v_mov_b32_e32 v119, v137
	global_store_dwordx2 v[126:127], v[118:119], off
	v_mad_u64_u32 v[118:119], s[18:19], s16, v34, 0
	v_mov_b32_e32 v32, v119
	v_mad_u64_u32 v[126:127], s[18:19], s17, v34, v[32:33]
	v_mov_b32_e32 v115, v141
	v_mov_b32_e32 v143, v123
	v_lshl_add_u64 v[122:123], v[128:129], 3, v[24:25]
	v_pk_mul_f32 v[128:129], v[132:133], s[6:7]
	v_pk_mul_f32 v[132:133], v[134:135], s[12:13]
	v_mov_b32_e32 v131, v144
	v_mov_b32_e32 v113, v107
	v_pk_add_f32 v[114:115], v[114:115], v[142:143] neg_lo:[0,1] neg_hi:[0,1]
	v_mov_b32_e32 v134, v120
	v_mov_b32_e32 v135, v129
	v_pk_add_f32 v[112:113], v[130:131], v[112:113] neg_lo:[0,1] neg_hi:[0,1]
	s_mov_b32 s18, 0x3f5ff5aa
	v_mov_b32_e32 v130, v124
	v_mov_b32_e32 v131, v133
	v_pk_fma_f32 v[134:135], v[114:115], s[14:15], v[134:135] op_sel_hi:[1,0,1] neg_lo:[1,0,1] neg_hi:[1,0,1]
	v_pk_fma_f32 v[130:131], v[112:113], s[18:19], v[130:131] op_sel_hi:[1,0,1] neg_lo:[1,0,1] neg_hi:[1,0,1]
	s_waitcnt vmcnt(4)
	v_mul_f32_e32 v31, v76, v13
	v_pk_add_f32 v[134:135], v[134:135], v[116:117]
	v_pk_fma_f32 v[130:131], v[110:111], s[8:9], v[130:131] op_sel_hi:[1,0,1]
	v_fma_f32 v127, v52, v12, -v31
	s_waitcnt vmcnt(2)
	v_mul_f32_e32 v31, v91, v23
	v_pk_add_f32 v[140:141], v[134:135], v[130:131] neg_lo:[0,1] neg_hi:[0,1]
	v_pk_add_f32 v[130:131], v[134:135], v[130:131]
	v_fma_f32 v139, v71, v22, -v31
	v_add_u32_e32 v31, 0x5b2, v37
	v_mov_b32_e32 v134, v130
	v_mov_b32_e32 v135, v141
	global_store_dwordx2 v[122:123], v[134:135], off
	v_mad_u64_u32 v[122:123], s[22:23], s16, v31, 0
	v_mov_b32_e32 v32, v123
	v_mov_b32_e32 v133, v125
	v_mad_u64_u32 v[134:135], s[22:23], s17, v31, v[32:33]
	v_pk_fma_f32 v[112:113], v[112:113], s[18:19], v[132:133] op_sel_hi:[1,0,1] neg_lo:[0,0,1] neg_hi:[0,0,1]
	v_mov_b32_e32 v129, v121
	v_add_u32_e32 v31, 63, v108
	v_pk_fma_f32 v[110:111], v[110:111], s[8:9], v[112:113] op_sel_hi:[1,0,1]
	v_pk_fma_f32 v[112:113], v[114:115], s[14:15], v[128:129] op_sel_hi:[1,0,1] neg_lo:[0,0,1] neg_hi:[0,0,1]
	v_mul_hi_u32 v32, v31, s15
	v_pk_add_f32 v[112:113], v[112:113], v[116:117]
	v_lshrrev_b32_e32 v34, 7, v32
	v_pk_add_f32 v[114:115], v[112:113], v[110:111]
	v_pk_add_f32 v[110:111], v[112:113], v[110:111] neg_lo:[0,1] neg_hi:[0,1]
	v_mul_lo_u32 v32, v34, s9
	v_mov_b32_e32 v112, v110
	v_mov_b32_e32 v113, v115
	;; [unrolled: 1-line block ×3, first 2 shown]
	v_sub_u32_e32 v32, v31, v32
	s_movk_i32 s19, 0x6a5
	global_store_dwordx2 v[104:105], v[112:113], off
	global_store_dwordx2 v[102:103], v[114:115], off
	v_mad_u64_u32 v[102:103], s[22:23], v34, s19, v[32:33]
	v_mad_u64_u32 v[104:105], s[22:23], s16, v102, 0
	v_mov_b32_e32 v32, v105
	v_mad_u64_u32 v[110:111], s[22:23], s17, v102, v[32:33]
	v_add_u32_e32 v31, 0xf3, v102
	v_mov_b32_e32 v105, v110
	v_mad_u64_u32 v[110:111], s[22:23], s16, v31, 0
	v_mov_b32_e32 v32, v111
	v_mad_u64_u32 v[112:113], s[22:23], s17, v31, v[32:33]
	v_add_u32_e32 v31, 0x1e6, v102
	v_mov_b32_e32 v111, v112
	;; [unrolled: 5-line block ×4, first 2 shown]
	v_mov_b32_e32 v115, v116
	v_mad_u64_u32 v[116:117], s[22:23], s16, v31, 0
	v_lshl_add_u64 v[118:119], v[118:119], 3, v[24:25]
	v_mov_b32_e32 v141, v131
	v_mov_b32_e32 v32, v117
	global_store_dwordx2 v[118:119], v[140:141], off
	v_mad_u64_u32 v[118:119], s[22:23], s17, v31, v[32:33]
	v_add_u32_e32 v31, 0x4bf, v102
	v_mov_b32_e32 v123, v134
	v_mov_b32_e32 v117, v118
	v_mad_u64_u32 v[118:119], s[22:23], s16, v31, 0
	v_lshl_add_u64 v[122:123], v[122:123], 3, v[24:25]
	v_mov_b32_e32 v137, v87
	v_mov_b32_e32 v32, v119
	global_store_dwordx2 v[122:123], v[136:137], off
	v_mad_u64_u32 v[122:123], s[22:23], s17, v31, v[32:33]
	v_add_u32_e32 v31, 0x5b2, v102
	v_mad_u64_u32 v[102:103], s[22:23], s16, v31, 0
	v_mov_b32_e32 v32, v103
	v_mov_b32_e32 v119, v122
	v_mad_u64_u32 v[122:123], s[22:23], s17, v31, v[32:33]
	v_mov_b32_e32 v128, v84
	v_mov_b32_e32 v129, v80
	;; [unrolled: 1-line block ×4, first 2 shown]
	v_mul_f32_e32 v92, v60, v21
	v_mov_b32_e32 v103, v122
	v_mov_b32_e32 v122, v60
	;; [unrolled: 1-line block ×5, first 2 shown]
	v_pk_mul_f32 v[128:129], v[128:129], v[130:131]
	v_mov_b32_e32 v90, v80
	v_mov_b32_e32 v132, v17
	;; [unrolled: 1-line block ×3, first 2 shown]
	v_fmac_f32_e32 v92, v84, v20
	v_pk_fma_f32 v[20:21], v[60:61], v[20:21], v[128:129] neg_lo:[0,0,1] neg_hi:[0,0,1]
	v_pk_fma_f32 v[122:123], v[122:123], v[124:125], v[128:129]
	v_mov_b32_e32 v88, v93
	v_mov_b32_e32 v128, v15
	;; [unrolled: 1-line block ×6, first 2 shown]
	v_pk_mul_f32 v[22:23], v[90:91], v[132:133]
	v_mul_f32_e32 v106, v75, v15
	v_mov_b32_e32 v32, v75
	v_mov_b32_e32 v66, v75
	;; [unrolled: 1-line block ×4, first 2 shown]
	v_pk_mul_f32 v[128:129], v[88:89], v[128:129]
	v_pk_fma_f32 v[16:17], v[58:59], v[16:17], v[22:23] neg_lo:[0,0,1] neg_hi:[0,0,1]
	v_pk_fma_f32 v[22:23], v[70:71], v[130:131], v[22:23]
	v_mov_b32_e32 v70, v18
	v_mov_b32_e32 v88, v89
	;; [unrolled: 1-line block ×5, first 2 shown]
	v_fmac_f32_e32 v106, v93, v14
	v_pk_fma_f32 v[14:15], v[32:33], v[14:15], v[128:129] neg_lo:[0,0,1] neg_hi:[0,0,1]
	v_pk_fma_f32 v[124:125], v[66:67], v[124:125], v[128:129]
	v_mov_b32_e32 v66, v67
	v_mov_b32_e32 v67, v52
	;; [unrolled: 1-line block ×3, first 2 shown]
	v_pk_mul_f32 v[12:13], v[88:89], v[18:19]
	v_mov_b32_e32 v21, v123
	v_mov_b32_e32 v15, v125
	v_pk_fma_f32 v[18:19], v[66:67], v[70:71], v[12:13] neg_lo:[0,0,1] neg_hi:[0,0,1]
	v_pk_fma_f32 v[12:13], v[66:67], v[70:71], v[12:13]
	v_pk_add_f32 v[128:129], v[14:15], v[20:21] neg_lo:[0,1] neg_hi:[0,1]
	v_mov_b32_e32 v17, v23
	v_mov_b32_e32 v19, v13
	;; [unrolled: 1-line block ×4, first 2 shown]
	v_pk_add_f32 v[66:67], v[18:19], v[16:17]
	v_mov_b32_e32 v18, v23
	v_mov_b32_e32 v19, v16
	v_pk_add_f32 v[16:17], v[106:107], v[92:93] neg_lo:[0,1] neg_hi:[0,1]
	v_mov_b32_e32 v12, v13
	v_mov_b32_e32 v13, v128
	v_pk_add_f32 v[18:19], v[12:13], v[18:19] neg_lo:[0,1] neg_hi:[0,1]
	v_pk_add_f32 v[12:13], v[16:17], v[12:13]
	v_mov_b32_e32 v126, v125
	v_mov_b32_e32 v138, v123
	v_add_f32_e32 v135, v106, v92
	v_add_f32_e32 v120, v127, v139
	v_pk_add_f32 v[14:15], v[14:15], v[20:21]
	v_mov_b32_e32 v19, v13
	v_pk_add_f32 v[12:13], v[126:127], v[138:139] neg_lo:[0,1] neg_hi:[0,1]
	v_add_f32_e32 v71, v67, v135
	v_mov_b32_e32 v121, v15
	v_mov_b32_e32 v134, v66
	v_add_f32_e32 v130, v120, v14
	v_mov_b32_e32 v131, v15
	v_mov_b32_e32 v70, v66
	;; [unrolled: 1-line block ×6, first 2 shown]
	v_pk_add_f32 v[20:21], v[120:121], v[134:135] neg_lo:[0,1] neg_hi:[0,1]
	v_pk_add_f32 v[70:71], v[130:131], v[70:71]
	v_pk_add_f32 v[22:23], v[22:23], v[92:93] neg_lo:[0,1] neg_hi:[0,1]
	v_pk_add_f32 v[122:123], v[12:13], v[16:17]
	v_pk_mul_f32 v[20:21], v[20:21], s[2:3]
	v_pk_add_f32 v[88:89], v[66:67], v[14:15] neg_lo:[0,1] neg_hi:[0,1]
	v_pk_add_f32 v[64:65], v[64:65], v[70:71]
	v_pk_mul_f32 v[22:23], v[22:23], s[10:11]
	v_pk_add_f32 v[92:93], v[12:13], v[16:17] neg_lo:[0,1] neg_hi:[0,1]
	v_mov_b32_e32 v123, v13
	v_pk_mul_f32 v[90:91], v[88:89], s[6:7]
	v_pk_fma_f32 v[88:89], v[88:89], s[6:7], v[20:21]
	v_pk_fma_f32 v[70:71], v[70:71], s[20:21], v[64:65] op_sel_hi:[1,0,1] neg_lo:[1,0,0] neg_hi:[1,0,0]
	v_pk_mul_f32 v[106:107], v[92:93], s[12:13]
	v_pk_fma_f32 v[92:93], v[92:93], s[12:13], v[22:23]
	v_pk_add_f32 v[122:123], v[122:123], v[18:19]
	v_pk_add_f32 v[88:89], v[88:89], v[70:71]
	v_pk_fma_f32 v[92:93], v[122:123], s[8:9], v[92:93] op_sel_hi:[1,0,1]
	v_lshl_add_u64 v[104:105], v[104:105], 3, v[24:25]
	v_pk_add_f32 v[124:125], v[88:89], v[92:93] neg_lo:[0,1] neg_hi:[0,1]
	v_pk_add_f32 v[88:89], v[88:89], v[92:93]
	v_lshl_add_u64 v[110:111], v[110:111], 3, v[24:25]
	global_store_dwordx2 v[104:105], v[64:65], off
	v_mov_b32_e32 v64, v88
	v_mov_b32_e32 v65, v125
	;; [unrolled: 1-line block ×6, first 2 shown]
	global_store_dwordx2 v[110:111], v[64:65], off
	v_mov_b32_e32 v64, v20
	v_mov_b32_e32 v65, v91
	v_pk_add_f32 v[14:15], v[14:15], v[120:121] neg_lo:[0,1] neg_hi:[0,1]
	v_pk_add_f32 v[12:13], v[16:17], v[18:19] neg_lo:[0,1] neg_hi:[0,1]
	v_mov_b32_e32 v16, v22
	v_mov_b32_e32 v17, v107
	;; [unrolled: 1-line block ×4, first 2 shown]
	v_pk_fma_f32 v[64:65], v[14:15], s[14:15], v[64:65] op_sel_hi:[1,0,1] neg_lo:[1,0,1] neg_hi:[1,0,1]
	v_pk_fma_f32 v[16:17], v[12:13], s[18:19], v[16:17] op_sel_hi:[1,0,1] neg_lo:[1,0,1] neg_hi:[1,0,1]
	;; [unrolled: 1-line block ×4, first 2 shown]
	v_pk_fma_f32 v[12:13], v[122:123], s[8:9], v[12:13] op_sel_hi:[1,0,1]
	v_pk_add_f32 v[14:15], v[14:15], v[70:71]
	v_pk_add_f32 v[64:65], v[64:65], v[70:71]
	;; [unrolled: 1-line block ×3, first 2 shown]
	v_pk_add_f32 v[12:13], v[14:15], v[12:13] neg_lo:[0,1] neg_hi:[0,1]
	v_pk_fma_f32 v[16:17], v[122:123], s[8:9], v[16:17] op_sel_hi:[1,0,1]
	v_mov_b32_e32 v14, v12
	v_add_u32_e32 v12, 0x7e, v108
	v_pk_add_f32 v[18:19], v[64:65], v[16:17] neg_lo:[0,1] neg_hi:[0,1]
	v_pk_add_f32 v[16:17], v[64:65], v[16:17]
	v_mov_b32_e32 v15, v21
	v_mov_b32_e32 v21, v13
	v_mul_hi_u32 v13, v12, s15
	v_lshl_add_u64 v[112:113], v[112:113], 3, v[24:25]
	v_lshl_add_u64 v[114:115], v[114:115], 3, v[24:25]
	v_mov_b32_e32 v64, v16
	v_mov_b32_e32 v65, v19
	v_lshrrev_b32_e32 v13, 7, v13
	global_store_dwordx2 v[112:113], v[64:65], off
	global_store_dwordx2 v[114:115], v[14:15], off
	v_mul_lo_u32 v14, v13, s9
	v_sub_u32_e32 v12, v12, v14
	v_mad_u64_u32 v[12:13], s[22:23], v13, s19, v[12:13]
	v_mad_u64_u32 v[14:15], s[22:23], s16, v12, 0
	v_mov_b32_e32 v16, v15
	v_mov_b32_e32 v19, v17
	v_mad_u64_u32 v[16:17], s[22:23], s17, v12, v[16:17]
	v_add_u32_e32 v13, 0xf3, v12
	v_lshl_add_u64 v[116:117], v[116:117], 3, v[24:25]
	v_lshl_add_u64 v[118:119], v[118:119], 3, v[24:25]
	v_mov_b32_e32 v15, v16
	v_mad_u64_u32 v[16:17], s[22:23], s16, v13, 0
	global_store_dwordx2 v[116:117], v[20:21], off
	global_store_dwordx2 v[118:119], v[18:19], off
	v_mov_b32_e32 v18, v17
	v_mad_u64_u32 v[18:19], s[22:23], s17, v13, v[18:19]
	v_add_u32_e32 v13, 0x1e6, v12
	v_mov_b32_e32 v17, v18
	v_mad_u64_u32 v[18:19], s[22:23], s16, v13, 0
	v_mov_b32_e32 v20, v19
	v_mad_u64_u32 v[20:21], s[22:23], s17, v13, v[20:21]
	v_add_u32_e32 v13, 0x2d9, v12
	v_mov_b32_e32 v19, v20
	v_mad_u64_u32 v[20:21], s[22:23], s16, v13, 0
	;; [unrolled: 5-line block ×4, first 2 shown]
	v_mov_b32_e32 v32, v65
	v_add_u32_e32 v31, 0x5b2, v12
	v_mad_u64_u32 v[66:67], s[22:23], s17, v13, v[32:33]
	v_mad_u64_u32 v[12:13], s[22:23], s16, v31, 0
	v_mov_b32_e32 v32, v13
	v_mov_b32_e32 v65, v66
	v_mad_u64_u32 v[66:67], s[22:23], s17, v31, v[32:33]
	v_mov_b32_e32 v13, v66
	v_mov_b32_e32 v80, v85
	;; [unrolled: 1-line block ×4, first 2 shown]
	v_mul_f32_e32 v98, v61, v5
	v_mov_b32_e32 v32, v61
	v_mov_b32_e32 v58, v61
	;; [unrolled: 1-line block ×4, first 2 shown]
	v_pk_mul_f32 v[66:67], v[80:81], v[66:67]
	v_mov_b32_e32 v79, v72
	v_mov_b32_e32 v70, v3
	;; [unrolled: 1-line block ×3, first 2 shown]
	v_fmac_f32_e32 v98, v85, v4
	v_mul_f32_e32 v74, v54, v3
	v_pk_fma_f32 v[4:5], v[32:33], v[4:5], v[66:67] neg_lo:[0,0,1] neg_hi:[0,0,1]
	v_pk_fma_f32 v[60:61], v[58:59], v[60:61], v[66:67]
	v_mov_b32_e32 v55, v50
	v_mov_b32_e32 v66, v2
	v_mov_b32_e32 v67, v11
	v_pk_mul_f32 v[70:71], v[78:79], v[70:71]
	v_fmac_f32_e32 v74, v78, v2
	v_pk_fma_f32 v[2:3], v[54:55], v[2:3], v[70:71] neg_lo:[0,0,1] neg_hi:[0,0,1]
	v_pk_fma_f32 v[54:55], v[54:55], v[66:67], v[70:71]
	v_mov_b32_e32 v70, v9
	v_mov_b32_e32 v71, v6
	v_mov_b32_e32 v52, v10
	v_mov_b32_e32 v73, v77
	v_mov_b32_e32 v10, v11
	v_mov_b32_e32 v11, v0
	v_mov_b32_e32 v32, v59
	v_mov_b32_e32 v58, v8
	v_mov_b32_e32 v59, v7
	v_pk_mul_f32 v[6:7], v[82:83], v[70:71]
	v_mov_b32_e32 v51, v53
	v_mov_b32_e32 v53, v1
	v_pk_mul_f32 v[0:1], v[72:73], v[10:11]
	v_mov_b32_e32 v5, v61
	v_mov_b32_e32 v3, v55
	v_pk_fma_f32 v[8:9], v[32:33], v[8:9], v[6:7] neg_lo:[0,0,1] neg_hi:[0,0,1]
	v_pk_fma_f32 v[6:7], v[56:57], v[58:59], v[6:7]
	v_pk_fma_f32 v[10:11], v[50:51], v[52:53], v[0:1] neg_lo:[0,0,1] neg_hi:[0,0,1]
	v_pk_fma_f32 v[0:1], v[50:51], v[52:53], v[0:1]
	v_pk_add_f32 v[66:67], v[2:3], v[4:5] neg_lo:[0,1] neg_hi:[0,1]
	v_mov_b32_e32 v9, v7
	v_mov_b32_e32 v11, v1
	;; [unrolled: 1-line block ×4, first 2 shown]
	v_pk_add_f32 v[50:51], v[10:11], v[8:9]
	v_mov_b32_e32 v6, v7
	v_mov_b32_e32 v7, v8
	v_pk_add_f32 v[8:9], v[74:75], v[98:99] neg_lo:[0,1] neg_hi:[0,1]
	v_mov_b32_e32 v0, v1
	v_mov_b32_e32 v1, v66
	v_pk_add_f32 v[6:7], v[0:1], v[6:7] neg_lo:[0,1] neg_hi:[0,1]
	v_pk_add_f32 v[0:1], v[8:9], v[0:1]
	v_mov_b32_e32 v94, v55
	v_mov_b32_e32 v96, v61
	v_add_f32_e32 v101, v74, v98
	v_add_f32_e32 v86, v95, v97
	v_pk_add_f32 v[2:3], v[2:3], v[4:5]
	v_mov_b32_e32 v7, v1
	v_pk_add_f32 v[0:1], v[94:95], v[96:97] neg_lo:[0,1] neg_hi:[0,1]
	v_add_f32_e32 v53, v51, v101
	v_mov_b32_e32 v87, v3
	v_mov_b32_e32 v100, v50
	v_add_f32_e32 v70, v86, v2
	v_mov_b32_e32 v71, v3
	v_mov_b32_e32 v52, v50
	v_mov_b32_e32 v10, v6
	v_mov_b32_e32 v11, v9
	v_mov_b32_e32 v54, v0
	v_mov_b32_e32 v55, v66
	v_pk_add_f32 v[4:5], v[86:87], v[100:101] neg_lo:[0,1] neg_hi:[0,1]
	v_pk_add_f32 v[52:53], v[70:71], v[52:53]
	v_pk_add_f32 v[10:11], v[10:11], v[54:55] neg_lo:[0,1] neg_hi:[0,1]
	v_pk_add_f32 v[70:71], v[0:1], v[8:9]
	v_pk_mul_f32 v[4:5], v[4:5], s[2:3]
	v_pk_add_f32 v[56:57], v[50:51], v[2:3] neg_lo:[0,1] neg_hi:[0,1]
	v_pk_add_f32 v[48:49], v[48:49], v[52:53]
	v_pk_mul_f32 v[10:11], v[10:11], s[10:11]
	v_pk_add_f32 v[54:55], v[0:1], v[8:9] neg_lo:[0,1] neg_hi:[0,1]
	v_mov_b32_e32 v71, v1
	v_pk_mul_f32 v[58:59], v[56:57], s[6:7]
	v_pk_fma_f32 v[56:57], v[56:57], s[6:7], v[4:5]
	v_pk_fma_f32 v[52:53], v[52:53], s[20:21], v[48:49] op_sel_hi:[1,0,1] neg_lo:[1,0,0] neg_hi:[1,0,0]
	v_pk_mul_f32 v[60:61], v[54:55], s[12:13]
	v_pk_fma_f32 v[54:55], v[54:55], s[12:13], v[10:11]
	v_pk_add_f32 v[70:71], v[70:71], v[6:7]
	v_pk_add_f32 v[56:57], v[56:57], v[52:53]
	v_pk_fma_f32 v[54:55], v[70:71], s[8:9], v[54:55] op_sel_hi:[1,0,1]
	v_lshl_add_u64 v[102:103], v[102:103], 3, v[24:25]
	v_mov_b32_e32 v125, v89
	v_lshl_add_u64 v[14:15], v[14:15], 3, v[24:25]
	v_pk_add_f32 v[72:73], v[56:57], v[54:55] neg_lo:[0,1] neg_hi:[0,1]
	v_pk_add_f32 v[54:55], v[56:57], v[54:55]
	global_store_dwordx2 v[102:103], v[124:125], off
	v_lshl_add_u64 v[16:17], v[16:17], 3, v[24:25]
	global_store_dwordx2 v[14:15], v[48:49], off
	v_mov_b32_e32 v14, v54
	v_mov_b32_e32 v15, v73
	;; [unrolled: 1-line block ×6, first 2 shown]
	global_store_dwordx2 v[16:17], v[14:15], off
	v_mov_b32_e32 v14, v4
	v_mov_b32_e32 v15, v59
	v_pk_add_f32 v[2:3], v[2:3], v[86:87] neg_lo:[0,1] neg_hi:[0,1]
	v_pk_add_f32 v[0:1], v[8:9], v[6:7] neg_lo:[0,1] neg_hi:[0,1]
	v_mov_b32_e32 v6, v10
	v_mov_b32_e32 v7, v61
	;; [unrolled: 1-line block ×4, first 2 shown]
	v_pk_fma_f32 v[14:15], v[2:3], s[14:15], v[14:15] op_sel_hi:[1,0,1] neg_lo:[1,0,1] neg_hi:[1,0,1]
	v_pk_fma_f32 v[6:7], v[0:1], s[18:19], v[6:7] op_sel_hi:[1,0,1] neg_lo:[1,0,1] neg_hi:[1,0,1]
	;; [unrolled: 1-line block ×4, first 2 shown]
	v_pk_fma_f32 v[0:1], v[70:71], s[8:9], v[0:1] op_sel_hi:[1,0,1]
	v_pk_add_f32 v[2:3], v[2:3], v[52:53]
	v_pk_add_f32 v[14:15], v[14:15], v[52:53]
	v_pk_fma_f32 v[6:7], v[70:71], s[8:9], v[6:7] op_sel_hi:[1,0,1]
	v_pk_add_f32 v[4:5], v[2:3], v[0:1]
	v_pk_add_f32 v[0:1], v[2:3], v[0:1] neg_lo:[0,1] neg_hi:[0,1]
	v_pk_add_f32 v[8:9], v[14:15], v[6:7] neg_lo:[0,1] neg_hi:[0,1]
	v_pk_add_f32 v[6:7], v[14:15], v[6:7]
	v_mov_b32_e32 v2, v0
	v_add_u32_e32 v0, 0xbd, v108
	v_lshl_add_u64 v[18:19], v[18:19], 3, v[24:25]
	v_lshl_add_u64 v[20:21], v[20:21], 3, v[24:25]
	;; [unrolled: 1-line block ×5, first 2 shown]
	v_mov_b32_e32 v14, v6
	v_mov_b32_e32 v15, v9
	;; [unrolled: 1-line block ×6, first 2 shown]
	v_cmp_gt_u32_e32 vcc, s9, v0
	global_store_dwordx2 v[18:19], v[14:15], off
	global_store_dwordx2 v[20:21], v[2:3], off
	global_store_dwordx2 v[22:23], v[4:5], off
	global_store_dwordx2 v[64:65], v[8:9], off
	global_store_dwordx2 v[12:13], v[72:73], off
	s_and_b64 exec, exec, vcc
	s_cbranch_execz .LBB0_20
; %bb.24:
	v_subrev_u32_e32 v1, 54, v108
	v_cndmask_b32_e64 v1, v1, v109, s[0:1]
	v_mul_i32_i24_e32 v68, 6, v1
	v_lshl_add_u64 v[14:15], v[68:69], 3, s[4:5]
	global_load_dwordx4 v[2:5], v[14:15], off offset:1920
	global_load_dwordx4 v[6:9], v[14:15], off offset:1936
	;; [unrolled: 1-line block ×3, first 2 shown]
	v_mov_b32_e32 v21, v28
	v_mov_b32_e32 v46, v29
	;; [unrolled: 1-line block ×13, first 2 shown]
	s_mov_b32 s0, 0xbf955555
	s_waitcnt vmcnt(2)
	v_mul_f32_e32 v34, v36, v3
	v_mov_b32_e32 v48, v5
	s_waitcnt vmcnt(0)
	v_mul_f32_e32 v1, v28, v11
	v_mul_f32_e32 v28, v27, v13
	v_mov_b32_e32 v49, v6
	v_mov_b32_e32 v50, v9
	;; [unrolled: 1-line block ×7, first 2 shown]
	v_fmac_f32_e32 v34, v44, v2
	v_fmac_f32_e32 v28, v29, v12
	v_mov_b32_e32 v36, v7
	v_mov_b32_e32 v52, v7
	;; [unrolled: 1-line block ×6, first 2 shown]
	v_pk_mul_f32 v[12:13], v[14:15], v[48:49]
	v_pk_mul_f32 v[14:15], v[62:63], v[54:55]
	v_fma_f32 v17, v26, v10, -v1
	v_pk_mul_f32 v[20:21], v[20:21], v[50:51]
	v_mov_b32_e32 v10, v8
	v_pk_mul_f32 v[26:27], v[46:47], v[56:57]
	v_add_f32_e32 v23, v34, v28
	v_mul_f32_e32 v5, v41, v5
	v_pk_fma_f32 v[36:37], v[16:17], v[36:37], v[12:13] op_sel:[0,0,1] op_sel_hi:[1,1,0] neg_lo:[1,0,0] neg_hi:[1,0,0]
	v_pk_fma_f32 v[12:13], v[18:19], v[52:53], v[12:13] op_sel:[0,0,1] op_sel_hi:[1,1,0]
	v_pk_fma_f32 v[18:19], v[38:39], v[2:3], v[14:15] neg_lo:[0,0,1] neg_hi:[0,0,1]
	v_pk_fma_f32 v[2:3], v[38:39], v[2:3], v[14:15]
	v_pk_fma_f32 v[8:9], v[22:23], v[8:9], v[20:21] op_sel_hi:[0,1,1] neg_lo:[0,0,1] neg_hi:[0,0,1]
	v_pk_fma_f32 v[10:11], v[42:43], v[10:11], v[20:21]
	v_pk_fma_f32 v[14:15], v[32:33], v[6:7], v[26:27] neg_lo:[0,0,1] neg_hi:[0,0,1]
	v_pk_fma_f32 v[6:7], v[32:33], v[6:7], v[26:27]
	v_fma_f32 v5, v35, v4, -v5
	v_mov_b32_e32 v37, v13
	v_mov_b32_e32 v19, v3
	v_mov_b32_e32 v9, v11
	v_mov_b32_e32 v15, v7
	v_mov_b32_e32 v35, v18
	v_mov_b32_e32 v29, v14
	v_mov_b32_e32 v4, v13
	v_mov_b32_e32 v16, v11
	v_mov_b32_e32 v6, v7
	v_mov_b32_e32 v7, v8
	v_mov_b32_e32 v10, v3
	v_mov_b32_e32 v11, v36
	v_add_f32_e32 v2, v5, v17
	v_pk_add_f32 v[12:13], v[34:35], v[28:29] neg_lo:[0,1] neg_hi:[0,1]
	v_pk_add_f32 v[4:5], v[4:5], v[16:17] neg_lo:[0,1] neg_hi:[0,1]
	v_pk_add_f32 v[8:9], v[36:37], v[8:9]
	v_pk_add_f32 v[14:15], v[18:19], v[14:15]
	v_pk_add_f32 v[6:7], v[6:7], v[10:11] neg_lo:[0,1] neg_hi:[0,1]
	v_add_f32_e32 v10, v2, v14
	v_add_f32_e32 v17, v9, v23
	v_mov_b32_e32 v22, v8
	v_mov_b32_e32 v3, v15
	v_pk_add_f32 v[20:21], v[6:7], v[4:5]
	v_mov_b32_e32 v26, v6
	v_mov_b32_e32 v27, v13
	;; [unrolled: 1-line block ×9, first 2 shown]
	v_pk_add_f32 v[18:19], v[14:15], v[8:9] neg_lo:[0,1] neg_hi:[0,1]
	v_pk_add_f32 v[34:35], v[22:23], v[2:3] neg_lo:[0,1] neg_hi:[0,1]
	;; [unrolled: 1-line block ×4, first 2 shown]
	v_pk_add_f32 v[10:11], v[10:11], v[16:17]
	v_pk_add_f32 v[16:17], v[20:21], v[12:13]
	;; [unrolled: 1-line block ×3, first 2 shown]
	v_pk_mul_f32 v[28:29], v[34:35], s[6:7]
	v_pk_mul_f32 v[30:31], v[18:19], s[2:3]
	;; [unrolled: 1-line block ×4, first 2 shown]
	v_mov_b32_e32 v3, v9
	v_mov_b32_e32 v15, v23
	v_pk_fma_f32 v[18:19], v[18:19], s[2:3], v[28:29]
	v_pk_fma_f32 v[6:7], v[6:7], s[10:11], v[26:27]
	v_pk_add_f32 v[2:3], v[2:3], v[14:15] neg_lo:[0,1] neg_hi:[0,1]
	v_pk_add_f32 v[4:5], v[4:5], v[12:13] neg_lo:[0,1] neg_hi:[0,1]
	v_mov_b32_e32 v8, v30
	v_mov_b32_e32 v9, v29
	;; [unrolled: 1-line block ×6, first 2 shown]
	v_pk_fma_f32 v[10:11], v[10:11], s[0:1], v[20:21] op_sel_hi:[1,0,1]
	v_pk_fma_f32 v[8:9], v[2:3], s[14:15], v[8:9] op_sel_hi:[1,0,1] neg_lo:[1,0,1] neg_hi:[1,0,1]
	v_pk_fma_f32 v[12:13], v[4:5], s[18:19], v[12:13] op_sel_hi:[1,0,1] neg_lo:[1,0,1] neg_hi:[1,0,1]
	;; [unrolled: 1-line block ×4, first 2 shown]
	v_pk_add_f32 v[18:19], v[18:19], v[10:11]
	v_pk_add_f32 v[8:9], v[8:9], v[10:11]
	;; [unrolled: 1-line block ×3, first 2 shown]
	v_pk_fma_f32 v[4:5], v[16:17], s[8:9], v[4:5] op_sel_hi:[1,0,1]
	v_pk_fma_f32 v[10:11], v[16:17], s[8:9], v[12:13] op_sel_hi:[1,0,1]
	;; [unrolled: 1-line block ×3, first 2 shown]
	v_pk_add_f32 v[14:15], v[8:9], v[10:11]
	v_pk_add_f32 v[8:9], v[8:9], v[10:11] neg_lo:[0,1] neg_hi:[0,1]
	v_pk_add_f32 v[10:11], v[2:3], v[4:5] neg_lo:[0,1] neg_hi:[0,1]
	v_pk_add_f32 v[2:3], v[2:3], v[4:5]
	v_mad_u64_u32 v[4:5], s[0:1], s16, v0, 0
	v_mov_b32_e32 v16, v5
	v_mad_u64_u32 v[0:1], s[0:1], s17, v0, v[16:17]
	v_mov_b32_e32 v5, v0
	v_lshl_add_u64 v[0:1], v[4:5], 3, v[24:25]
	v_add_u32_e32 v5, 0x1b0, v108
	global_store_dwordx2 v[0:1], v[20:21], off
	v_mad_u64_u32 v[0:1], s[0:1], s16, v5, 0
	v_mov_b32_e32 v4, v1
	v_mad_u64_u32 v[4:5], s[0:1], s17, v5, v[4:5]
	v_pk_add_f32 v[12:13], v[18:19], v[6:7]
	v_pk_add_f32 v[6:7], v[18:19], v[6:7] neg_lo:[0,1] neg_hi:[0,1]
	v_mov_b32_e32 v1, v4
	v_lshl_add_u64 v[0:1], v[0:1], 3, v[24:25]
	v_mov_b32_e32 v4, v12
	v_mov_b32_e32 v5, v7
	global_store_dwordx2 v[0:1], v[4:5], off
	v_add_u32_e32 v5, 0x2a3, v108
	v_mad_u64_u32 v[0:1], s[0:1], s16, v5, 0
	v_mov_b32_e32 v4, v1
	v_mad_u64_u32 v[4:5], s[0:1], s17, v5, v[4:5]
	v_mov_b32_e32 v1, v4
	v_lshl_add_u64 v[0:1], v[0:1], 3, v[24:25]
	v_mov_b32_e32 v4, v14
	v_mov_b32_e32 v5, v9
	global_store_dwordx2 v[0:1], v[4:5], off
	v_add_u32_e32 v5, 0x396, v108
	v_mad_u64_u32 v[0:1], s[0:1], s16, v5, 0
	v_mov_b32_e32 v4, v1
	v_mad_u64_u32 v[4:5], s[0:1], s17, v5, v[4:5]
	v_mov_b32_e32 v1, v4
	v_lshl_add_u64 v[0:1], v[0:1], 3, v[24:25]
	v_mov_b32_e32 v4, v10
	v_mov_b32_e32 v5, v3
	v_add_u32_e32 v3, 0x489, v108
	global_store_dwordx2 v[0:1], v[4:5], off
	v_mad_u64_u32 v[0:1], s[0:1], s16, v3, 0
	v_mov_b32_e32 v4, v1
	v_mad_u64_u32 v[4:5], s[0:1], s17, v3, v[4:5]
	v_mov_b32_e32 v1, v4
	v_lshl_add_u64 v[0:1], v[0:1], 3, v[24:25]
	v_mov_b32_e32 v3, v11
	global_store_dwordx2 v[0:1], v[2:3], off
	v_add_u32_e32 v3, 0x57c, v108
	v_mad_u64_u32 v[0:1], s[0:1], s16, v3, 0
	v_mov_b32_e32 v2, v1
	v_mad_u64_u32 v[2:3], s[0:1], s17, v3, v[2:3]
	v_mov_b32_e32 v1, v2
	v_lshl_add_u64 v[0:1], v[0:1], 3, v[24:25]
	v_mov_b32_e32 v9, v15
	v_add_u32_e32 v3, 0x66f, v108
	global_store_dwordx2 v[0:1], v[8:9], off
	v_mad_u64_u32 v[0:1], s[0:1], s16, v3, 0
	v_mov_b32_e32 v2, v1
	v_mad_u64_u32 v[2:3], s[0:1], s17, v3, v[2:3]
	v_mov_b32_e32 v1, v2
	v_lshl_add_u64 v[0:1], v[0:1], 3, v[24:25]
	v_mov_b32_e32 v7, v13
	global_store_dwordx2 v[0:1], v[6:7], off
	s_endpgm
	.section	.rodata,"a",@progbits
	.p2align	6, 0x0
	.amdhsa_kernel fft_rtc_fwd_len1701_factors_3_3_3_3_3_7_wgs_63_tpt_63_halfLds_sp_op_CI_CI_sbrr_dirReg
		.amdhsa_group_segment_fixed_size 0
		.amdhsa_private_segment_fixed_size 0
		.amdhsa_kernarg_size 104
		.amdhsa_user_sgpr_count 2
		.amdhsa_user_sgpr_dispatch_ptr 0
		.amdhsa_user_sgpr_queue_ptr 0
		.amdhsa_user_sgpr_kernarg_segment_ptr 1
		.amdhsa_user_sgpr_dispatch_id 0
		.amdhsa_user_sgpr_kernarg_preload_length 0
		.amdhsa_user_sgpr_kernarg_preload_offset 0
		.amdhsa_user_sgpr_private_segment_size 0
		.amdhsa_uses_dynamic_stack 0
		.amdhsa_enable_private_segment 0
		.amdhsa_system_sgpr_workgroup_id_x 1
		.amdhsa_system_sgpr_workgroup_id_y 0
		.amdhsa_system_sgpr_workgroup_id_z 0
		.amdhsa_system_sgpr_workgroup_info 0
		.amdhsa_system_vgpr_workitem_id 0
		.amdhsa_next_free_vgpr 148
		.amdhsa_next_free_sgpr 32
		.amdhsa_accum_offset 148
		.amdhsa_reserve_vcc 1
		.amdhsa_float_round_mode_32 0
		.amdhsa_float_round_mode_16_64 0
		.amdhsa_float_denorm_mode_32 3
		.amdhsa_float_denorm_mode_16_64 3
		.amdhsa_dx10_clamp 1
		.amdhsa_ieee_mode 1
		.amdhsa_fp16_overflow 0
		.amdhsa_tg_split 0
		.amdhsa_exception_fp_ieee_invalid_op 0
		.amdhsa_exception_fp_denorm_src 0
		.amdhsa_exception_fp_ieee_div_zero 0
		.amdhsa_exception_fp_ieee_overflow 0
		.amdhsa_exception_fp_ieee_underflow 0
		.amdhsa_exception_fp_ieee_inexact 0
		.amdhsa_exception_int_div_zero 0
	.end_amdhsa_kernel
	.text
.Lfunc_end0:
	.size	fft_rtc_fwd_len1701_factors_3_3_3_3_3_7_wgs_63_tpt_63_halfLds_sp_op_CI_CI_sbrr_dirReg, .Lfunc_end0-fft_rtc_fwd_len1701_factors_3_3_3_3_3_7_wgs_63_tpt_63_halfLds_sp_op_CI_CI_sbrr_dirReg
                                        ; -- End function
	.section	.AMDGPU.csdata,"",@progbits
; Kernel info:
; codeLenInByte = 18916
; NumSgprs: 38
; NumVgprs: 148
; NumAgprs: 0
; TotalNumVgprs: 148
; ScratchSize: 0
; MemoryBound: 0
; FloatMode: 240
; IeeeMode: 1
; LDSByteSize: 0 bytes/workgroup (compile time only)
; SGPRBlocks: 4
; VGPRBlocks: 18
; NumSGPRsForWavesPerEU: 38
; NumVGPRsForWavesPerEU: 148
; AccumOffset: 148
; Occupancy: 3
; WaveLimiterHint : 1
; COMPUTE_PGM_RSRC2:SCRATCH_EN: 0
; COMPUTE_PGM_RSRC2:USER_SGPR: 2
; COMPUTE_PGM_RSRC2:TRAP_HANDLER: 0
; COMPUTE_PGM_RSRC2:TGID_X_EN: 1
; COMPUTE_PGM_RSRC2:TGID_Y_EN: 0
; COMPUTE_PGM_RSRC2:TGID_Z_EN: 0
; COMPUTE_PGM_RSRC2:TIDIG_COMP_CNT: 0
; COMPUTE_PGM_RSRC3_GFX90A:ACCUM_OFFSET: 36
; COMPUTE_PGM_RSRC3_GFX90A:TG_SPLIT: 0
	.text
	.p2alignl 6, 3212836864
	.fill 256, 4, 3212836864
	.type	__hip_cuid_29e9c7c72f3a315,@object ; @__hip_cuid_29e9c7c72f3a315
	.section	.bss,"aw",@nobits
	.globl	__hip_cuid_29e9c7c72f3a315
__hip_cuid_29e9c7c72f3a315:
	.byte	0                               ; 0x0
	.size	__hip_cuid_29e9c7c72f3a315, 1

	.ident	"AMD clang version 19.0.0git (https://github.com/RadeonOpenCompute/llvm-project roc-6.4.0 25133 c7fe45cf4b819c5991fe208aaa96edf142730f1d)"
	.section	".note.GNU-stack","",@progbits
	.addrsig
	.addrsig_sym __hip_cuid_29e9c7c72f3a315
	.amdgpu_metadata
---
amdhsa.kernels:
  - .agpr_count:     0
    .args:
      - .actual_access:  read_only
        .address_space:  global
        .offset:         0
        .size:           8
        .value_kind:     global_buffer
      - .offset:         8
        .size:           8
        .value_kind:     by_value
      - .actual_access:  read_only
        .address_space:  global
        .offset:         16
        .size:           8
        .value_kind:     global_buffer
      - .actual_access:  read_only
        .address_space:  global
        .offset:         24
        .size:           8
        .value_kind:     global_buffer
      - .actual_access:  read_only
        .address_space:  global
        .offset:         32
        .size:           8
        .value_kind:     global_buffer
      - .offset:         40
        .size:           8
        .value_kind:     by_value
      - .actual_access:  read_only
        .address_space:  global
        .offset:         48
        .size:           8
        .value_kind:     global_buffer
      - .actual_access:  read_only
        .address_space:  global
        .offset:         56
        .size:           8
        .value_kind:     global_buffer
      - .offset:         64
        .size:           4
        .value_kind:     by_value
      - .actual_access:  read_only
        .address_space:  global
        .offset:         72
        .size:           8
        .value_kind:     global_buffer
      - .actual_access:  read_only
        .address_space:  global
        .offset:         80
        .size:           8
        .value_kind:     global_buffer
      - .actual_access:  read_only
        .address_space:  global
        .offset:         88
        .size:           8
        .value_kind:     global_buffer
      - .actual_access:  write_only
        .address_space:  global
        .offset:         96
        .size:           8
        .value_kind:     global_buffer
    .group_segment_fixed_size: 0
    .kernarg_segment_align: 8
    .kernarg_segment_size: 104
    .language:       OpenCL C
    .language_version:
      - 2
      - 0
    .max_flat_workgroup_size: 63
    .name:           fft_rtc_fwd_len1701_factors_3_3_3_3_3_7_wgs_63_tpt_63_halfLds_sp_op_CI_CI_sbrr_dirReg
    .private_segment_fixed_size: 0
    .sgpr_count:     38
    .sgpr_spill_count: 0
    .symbol:         fft_rtc_fwd_len1701_factors_3_3_3_3_3_7_wgs_63_tpt_63_halfLds_sp_op_CI_CI_sbrr_dirReg.kd
    .uniform_work_group_size: 1
    .uses_dynamic_stack: false
    .vgpr_count:     148
    .vgpr_spill_count: 0
    .wavefront_size: 64
amdhsa.target:   amdgcn-amd-amdhsa--gfx950
amdhsa.version:
  - 1
  - 2
...

	.end_amdgpu_metadata
